;; amdgpu-corpus repo=ROCm/rocFFT kind=compiled arch=gfx1201 opt=O3
	.text
	.amdgcn_target "amdgcn-amd-amdhsa--gfx1201"
	.amdhsa_code_object_version 6
	.protected	bluestein_single_fwd_len150_dim1_half_op_CI_CI ; -- Begin function bluestein_single_fwd_len150_dim1_half_op_CI_CI
	.globl	bluestein_single_fwd_len150_dim1_half_op_CI_CI
	.p2align	8
	.type	bluestein_single_fwd_len150_dim1_half_op_CI_CI,@function
bluestein_single_fwd_len150_dim1_half_op_CI_CI: ; @bluestein_single_fwd_len150_dim1_half_op_CI_CI
; %bb.0:
	s_load_b128 s[12:15], s[0:1], 0x28
	v_mul_u32_u24_e32 v1, 0x3334, v0
	s_mov_b32 s2, exec_lo
	s_delay_alu instid0(VALU_DEP_1) | instskip(NEXT) | instid1(VALU_DEP_1)
	v_lshrrev_b32_e32 v1, 16, v1
	v_mad_co_u64_u32 v[16:17], null, ttmp9, 12, v[1:2]
	v_mov_b32_e32 v17, 0
	s_wait_kmcnt 0x0
	s_delay_alu instid0(VALU_DEP_1)
	v_cmpx_gt_u64_e64 s[12:13], v[16:17]
	s_cbranch_execz .LBB0_2
; %bb.1:
	s_clause 0x1
	s_load_b128 s[4:7], s[0:1], 0x18
	s_load_b128 s[8:11], s[0:1], 0x0
	v_mul_lo_u16 v1, v1, 5
	s_delay_alu instid0(VALU_DEP_1) | instskip(NEXT) | instid1(VALU_DEP_1)
	v_sub_nc_u16 v0, v0, v1
	v_and_b32_e32 v111, 0xffff, v0
	v_mul_lo_u16 v0, v0, 10
	s_delay_alu instid0(VALU_DEP_2) | instskip(NEXT) | instid1(VALU_DEP_2)
	v_or_b32_e32 v80, 0x50, v111
	v_and_b32_e32 v0, 0xffff, v0
	s_wait_kmcnt 0x0
	s_load_b128 s[16:19], s[4:5], 0x0
	s_wait_kmcnt 0x0
	v_mad_co_u64_u32 v[1:2], null, s18, v16, 0
	v_mad_co_u64_u32 v[3:4], null, s16, v111, 0
	;; [unrolled: 1-line block ×3, first 2 shown]
	s_mul_u64 s[2:3], s[16:17], 60
	s_mul_u64 s[4:5], s[16:17], 0x78
	s_mul_i32 s12, s17, 0xfffffdf8
	s_delay_alu instid0(VALU_DEP_2) | instskip(NEXT) | instid1(VALU_DEP_2)
	v_mad_co_u64_u32 v[11:12], null, s19, v16, v[2:3]
	v_mov_b32_e32 v2, v8
	v_or_b32_e32 v95, 0x78, v111
	v_or_b32_e32 v65, 40, v111
	v_lshlrev_b32_e32 v37, 2, v111
	s_wait_alu 0xfffe
	s_sub_co_i32 s12, s12, s16
	v_add_nc_u32_e32 v31, 5, v111
	v_mad_co_u64_u32 v[5:6], null, s16, v95, 0
	v_mad_co_u64_u32 v[9:10], null, s16, v65, 0
	s_delay_alu instid0(VALU_DEP_2) | instskip(NEXT) | instid1(VALU_DEP_3)
	v_mad_co_u64_u32 v[12:13], null, s17, v111, v[4:5]
	v_mad_co_u64_u32 v[13:14], null, s17, v95, v[6:7]
	;; [unrolled: 1-line block ×3, first 2 shown]
	v_mov_b32_e32 v2, v11
	v_mov_b32_e32 v8, v10
	;; [unrolled: 1-line block ×3, first 2 shown]
	s_clause 0x10
	global_load_b32 v108, v37, s[8:9] offset:300
	global_load_b32 v118, v37, s[8:9]
	global_load_b32 v98, v37, s[8:9] offset:20
	global_load_b32 v117, v37, s[8:9] offset:60
	;; [unrolled: 1-line block ×15, first 2 shown]
	v_mov_b32_e32 v6, v13
	v_lshlrev_b64_e32 v[1:2], 2, v[1:2]
	v_mad_co_u64_u32 v[10:11], null, s17, v65, v[8:9]
	v_lshlrev_b64_e32 v[3:4], 2, v[3:4]
	v_mov_b32_e32 v8, v14
	v_lshlrev_b64_e32 v[5:6], 2, v[5:6]
	v_add_co_u32 v11, vcc_lo, s14, v1
	v_add_co_ci_u32_e32 v12, vcc_lo, s15, v2, vcc_lo
	s_delay_alu instid0(VALU_DEP_4) | instskip(NEXT) | instid1(VALU_DEP_3)
	v_lshlrev_b64_e32 v[1:2], 2, v[7:8]
	v_add_co_u32 v3, vcc_lo, v11, v3
	s_wait_alu 0xfffd
	s_delay_alu instid0(VALU_DEP_3)
	v_add_co_ci_u32_e32 v4, vcc_lo, v12, v4, vcc_lo
	v_add_co_u32 v5, vcc_lo, v11, v5
	s_wait_alu 0xfffd
	v_add_co_ci_u32_e32 v6, vcc_lo, v12, v6, vcc_lo
	v_add_co_u32 v1, vcc_lo, v11, v1
	s_wait_alu 0xfffd
	v_add_co_ci_u32_e32 v2, vcc_lo, v12, v2, vcc_lo
	s_clause 0x3
	global_load_b32 v100, v37, s[8:9] offset:540
	global_load_b32 v77, v37, s[8:9] offset:560
	;; [unrolled: 1-line block ×4, first 2 shown]
	s_clause 0x2
	global_load_b32 v7, v[3:4], off
	global_load_b32 v8, v[5:6], off
	;; [unrolled: 1-line block ×3, first 2 shown]
	global_load_b32 v75, v37, s[8:9] offset:40
	v_lshlrev_b64_e32 v[1:2], 2, v[9:10]
	s_clause 0x7
	global_load_b32 v67, v37, s[8:9] offset:280
	global_load_b32 v69, v37, s[8:9] offset:220
	;; [unrolled: 1-line block ×8, first 2 shown]
	v_add_co_u32 v1, vcc_lo, v11, v1
	s_wait_alu 0xfffd
	v_add_co_ci_u32_e32 v2, vcc_lo, v12, v2, vcc_lo
	v_add_co_u32 v3, vcc_lo, v3, s2
	s_wait_alu 0xfffd
	v_add_co_ci_u32_e32 v4, vcc_lo, s3, v4, vcc_lo
	s_clause 0x1
	global_load_b32 v9, v[1:2], off
	global_load_b32 v10, v[3:4], off
	v_add_co_u32 v1, vcc_lo, v3, s2
	s_wait_alu 0xfffd
	v_add_co_ci_u32_e32 v2, vcc_lo, s3, v4, vcc_lo
	s_delay_alu instid0(VALU_DEP_2) | instskip(SKIP_1) | instid1(VALU_DEP_2)
	v_add_co_u32 v3, vcc_lo, v1, s2
	s_wait_alu 0xfffd
	v_add_co_ci_u32_e32 v4, vcc_lo, s3, v2, vcc_lo
	s_clause 0x1
	global_load_b32 v11, v[1:2], off
	global_load_b32 v12, v[3:4], off
	v_add_co_u32 v1, vcc_lo, v3, s2
	s_wait_alu 0xfffd
	v_add_co_ci_u32_e32 v2, vcc_lo, s3, v4, vcc_lo
	s_delay_alu instid0(VALU_DEP_2) | instskip(SKIP_1) | instid1(VALU_DEP_2)
	v_add_co_u32 v3, vcc_lo, v1, s2
	s_wait_alu 0xfffd
	v_add_co_ci_u32_e32 v4, vcc_lo, s3, v2, vcc_lo
	global_load_b32 v14, v[1:2], off
	v_add_co_u32 v1, vcc_lo, v3, s2
	s_wait_alu 0xfffd
	v_add_co_ci_u32_e32 v2, vcc_lo, s3, v4, vcc_lo
	global_load_b32 v15, v[3:4], off
	;; [unrolled: 4-line block ×3, first 2 shown]
	global_load_b32 v18, v[3:4], off
	v_add_co_u32 v1, vcc_lo, v3, s4
	s_wait_alu 0xfffd
	v_add_co_ci_u32_e32 v2, vcc_lo, s5, v4, vcc_lo
	global_load_b32 v19, v[1:2], off
	v_mad_co_u64_u32 v[1:2], null, 0xfffffdf8, s16, v[1:2]
	s_wait_alu 0xfffe
	s_delay_alu instid0(VALU_DEP_1) | instskip(NEXT) | instid1(VALU_DEP_2)
	v_add_nc_u32_e32 v2, s12, v2
	v_add_co_u32 v3, vcc_lo, v1, s2
	s_wait_alu 0xfffd
	s_delay_alu instid0(VALU_DEP_2)
	v_add_co_ci_u32_e32 v4, vcc_lo, s3, v2, vcc_lo
	global_load_b32 v20, v[1:2], off
	global_load_b32 v21, v[3:4], off
	v_add_co_u32 v1, vcc_lo, v3, s2
	s_wait_alu 0xfffd
	v_add_co_ci_u32_e32 v2, vcc_lo, s3, v4, vcc_lo
	s_delay_alu instid0(VALU_DEP_2) | instskip(SKIP_1) | instid1(VALU_DEP_2)
	v_add_co_u32 v3, vcc_lo, v1, s2
	s_wait_alu 0xfffd
	v_add_co_ci_u32_e32 v4, vcc_lo, s3, v2, vcc_lo
	global_load_b32 v22, v[1:2], off
	v_add_co_u32 v1, vcc_lo, v3, s2
	s_wait_alu 0xfffd
	v_add_co_ci_u32_e32 v2, vcc_lo, s3, v4, vcc_lo
	global_load_b32 v23, v[3:4], off
	;; [unrolled: 4-line block ×5, first 2 shown]
	v_add_co_u32 v5, vcc_lo, v3, s2
	s_wait_alu 0xfffd
	v_add_co_ci_u32_e32 v6, vcc_lo, s3, v4, vcc_lo
	s_delay_alu instid0(VALU_DEP_1)
	v_mad_co_u64_u32 v[1:2], null, 0xfffffdf8, s16, v[5:6]
	global_load_b32 v27, v[3:4], off
	global_load_b32 v5, v[5:6], off
	v_add_nc_u32_e32 v2, s12, v2
	v_add_co_u32 v3, vcc_lo, v1, s2
	s_wait_alu 0xfffd
	s_delay_alu instid0(VALU_DEP_2)
	v_add_co_ci_u32_e32 v4, vcc_lo, s3, v2, vcc_lo
	global_load_b32 v6, v[1:2], off
	v_add_co_u32 v1, vcc_lo, v3, s4
	s_wait_alu 0xfffd
	v_add_co_ci_u32_e32 v2, vcc_lo, s5, v4, vcc_lo
	global_load_b32 v28, v[3:4], off
	global_load_b32 v29, v[1:2], off
	v_add_co_u32 v1, vcc_lo, v1, s2
	s_wait_alu 0xfffd
	v_add_co_ci_u32_e32 v2, vcc_lo, s3, v2, vcc_lo
	s_delay_alu instid0(VALU_DEP_2) | instskip(SKIP_1) | instid1(VALU_DEP_2)
	v_add_co_u32 v3, vcc_lo, v1, s2
	s_wait_alu 0xfffd
	v_add_co_ci_u32_e32 v4, vcc_lo, s3, v2, vcc_lo
	global_load_b32 v30, v[1:2], off
	global_load_b32 v33, v[3:4], off
	v_add_co_u32 v1, vcc_lo, v3, s2
	s_wait_alu 0xfffd
	v_add_co_ci_u32_e32 v2, vcc_lo, s3, v4, vcc_lo
	s_delay_alu instid0(VALU_DEP_2) | instskip(SKIP_1) | instid1(VALU_DEP_2)
	v_add_co_u32 v3, vcc_lo, v1, s2
	s_wait_alu 0xfffd
	v_add_co_ci_u32_e32 v4, vcc_lo, s3, v2, vcc_lo
	global_load_b32 v34, v[1:2], off
	v_add_co_u32 v1, vcc_lo, v3, s2
	s_wait_alu 0xfffd
	v_add_co_ci_u32_e32 v2, vcc_lo, s3, v4, vcc_lo
	global_load_b32 v35, v[3:4], off
	;; [unrolled: 4-line block ×3, first 2 shown]
	global_load_b32 v2, v[3:4], off
	v_mul_hi_u32 v3, 0xaaaaaaab, v16
	s_load_b128 s[4:7], s[6:7], 0x0
	s_add_nc_u64 s[2:3], s[8:9], 0x258
	s_delay_alu instid0(VALU_DEP_1) | instskip(NEXT) | instid1(VALU_DEP_1)
	v_lshrrev_b32_e32 v3, 3, v3
	v_mul_lo_u32 v3, v3, 12
	s_delay_alu instid0(VALU_DEP_1) | instskip(NEXT) | instid1(VALU_DEP_1)
	v_sub_nc_u32_e32 v3, v16, v3
	v_mul_u32_u24_e32 v3, 0x96, v3
	s_delay_alu instid0(VALU_DEP_1) | instskip(NEXT) | instid1(VALU_DEP_1)
	v_lshlrev_b32_e32 v32, 2, v3
	v_add_nc_u32_e32 v83, v37, v32
	v_lshl_add_u32 v124, v0, 2, v32
	s_wait_loadcnt 0x3b
	v_lshrrev_b32_e32 v112, 16, v108
	s_wait_loadcnt 0x3a
	v_lshrrev_b32_e32 v121, 16, v118
	;; [unrolled: 2-line block ×20, first 2 shown]
	v_lshrrev_b32_e32 v3, 16, v7
	v_mul_f16_e32 v4, v121, v7
	v_lshrrev_b32_e32 v36, 16, v8
	v_mul_f16_e32 v38, v105, v8
	;; [unrolled: 2-line block ×4, first 2 shown]
	v_fma_f16 v3, v118, v3, -v4
	v_mul_f16_e32 v45, v105, v36
	v_fma_f16 v36, v102, v36, -v38
	v_mul_f16_e32 v38, v90, v39
	v_fma_f16 v39, v87, v39, -v40
	v_fmac_f16_e32 v43, v118, v7
	v_fmac_f16_e32 v45, v102, v8
	v_lshrrev_b32_e32 v103, 16, v100
	v_fmac_f16_e32 v38, v87, v13
	v_lshrrev_b32_e32 v81, 16, v77
	s_wait_loadcnt 0x1a
	v_lshrrev_b32_e32 v41, 16, v9
	v_mul_f16_e32 v42, v74, v9
	s_wait_loadcnt 0x19
	v_lshrrev_b32_e32 v4, 16, v10
	v_mul_f16_e32 v44, v120, v10
	v_pack_b32_f16 v38, v38, v39
	v_mul_f16_e32 v40, v74, v41
	v_fma_f16 v41, v72, v41, -v42
	v_mul_f16_e32 v7, v120, v4
	v_fma_f16 v4, v117, v4, -v44
	v_pack_b32_f16 v36, v45, v36
	v_fmac_f16_e32 v40, v72, v9
	v_pack_b32_f16 v3, v43, v3
	s_wait_loadcnt 0x18
	v_lshrrev_b32_e32 v42, 16, v11
	v_mul_f16_e32 v44, v119, v11
	v_fmac_f16_e32 v7, v117, v10
	s_wait_loadcnt 0x17
	v_lshrrev_b32_e32 v10, 16, v12
	v_mul_f16_e32 v13, v116, v12
	v_mul_f16_e32 v8, v119, v42
	v_fma_f16 v9, v115, v42, -v44
	v_pack_b32_f16 v4, v7, v4
	v_mul_f16_e32 v7, v116, v10
	v_fma_f16 v10, v113, v10, -v13
	v_fmac_f16_e32 v8, v115, v11
	s_wait_loadcnt 0x16
	v_lshrrev_b32_e32 v11, 16, v14
	v_mul_f16_e32 v13, v114, v14
	v_fmac_f16_e32 v7, v113, v12
	v_pack_b32_f16 v39, v40, v41
	v_pack_b32_f16 v8, v8, v9
	v_mul_f16_e32 v9, v114, v11
	s_wait_loadcnt 0x15
	v_lshrrev_b32_e32 v12, 16, v15
	v_fma_f16 v11, v110, v11, -v13
	v_pack_b32_f16 v7, v7, v10
	v_mul_f16_e32 v40, v112, v15
	v_fmac_f16_e32 v9, v110, v14
	v_mul_f16_e32 v10, v112, v12
	s_wait_loadcnt 0x14
	v_lshrrev_b32_e32 v13, 16, v17
	v_mul_f16_e32 v14, v109, v17
	v_fma_f16 v12, v108, v12, -v40
	v_pack_b32_f16 v9, v9, v11
	s_wait_loadcnt 0x13
	v_lshrrev_b32_e32 v11, 16, v18
	v_fmac_f16_e32 v10, v108, v15
	v_mul_f16_e32 v15, v109, v13
	v_fma_f16 v13, v106, v13, -v14
	s_wait_loadcnt 0x12
	v_lshrrev_b32_e32 v41, 16, v19
	v_mul_f16_e32 v14, v107, v11
	v_mul_f16_e32 v40, v107, v18
	v_fmac_f16_e32 v15, v106, v17
	v_mul_f16_e32 v17, v103, v19
	v_pack_b32_f16 v10, v10, v12
	v_fmac_f16_e32 v14, v104, v18
	v_mul_f16_e32 v18, v103, v41
	v_pack_b32_f16 v12, v15, v13
	v_fma_f16 v13, v100, v41, -v17
	ds_store_b32 v83, v4 offset:60
	ds_store_b32 v83, v8 offset:120
	;; [unrolled: 1-line block ×6, first 2 shown]
	v_fma_f16 v11, v104, v11, -v40
	v_fmac_f16_e32 v18, v100, v19
	v_lshrrev_b32_e32 v78, 16, v75
	v_lshrrev_b32_e32 v76, 16, v73
	;; [unrolled: 1-line block ×3, first 2 shown]
	v_pack_b32_f16 v11, v14, v11
	s_wait_loadcnt 0x11
	v_lshrrev_b32_e32 v4, 16, v20
	v_mul_f16_e32 v7, v101, v20
	v_pack_b32_f16 v8, v18, v13
	s_wait_loadcnt 0x10
	v_lshrrev_b32_e32 v10, 16, v21
	ds_store_b32 v83, v36 offset:480
	ds_store_b32 v83, v11 offset:420
	v_mul_f16_e32 v9, v101, v4
	v_fma_f16 v4, v98, v4, -v7
	v_mul_f16_e32 v7, v99, v21
	ds_store_b32 v83, v8 offset:540
	v_mul_f16_e32 v8, v99, v10
	v_fmac_f16_e32 v9, v98, v20
	s_wait_loadcnt 0xf
	v_lshrrev_b32_e32 v11, 16, v22
	v_mul_f16_e32 v12, v97, v22
	v_fma_f16 v7, v96, v10, -v7
	v_fmac_f16_e32 v8, v96, v21
	v_pack_b32_f16 v4, v9, v4
	v_mul_f16_e32 v9, v97, v11
	v_fma_f16 v10, v93, v11, -v12
	s_wait_loadcnt 0xe
	v_lshrrev_b32_e32 v11, 16, v23
	v_mul_f16_e32 v12, v94, v23
	ds_store_2addr_b32 v83, v3, v4 offset1:5
	v_pack_b32_f16 v3, v8, v7
	v_fmac_f16_e32 v9, v93, v22
	v_mul_f16_e32 v4, v94, v11
	s_wait_loadcnt 0xd
	v_lshrrev_b32_e32 v7, 16, v24
	v_fma_f16 v8, v91, v11, -v12
	v_mul_f16_e32 v11, v92, v24
	v_pack_b32_f16 v9, v9, v10
	v_fmac_f16_e32 v4, v91, v23
	v_mul_f16_e32 v10, v92, v7
	s_wait_loadcnt 0xc
	v_lshrrev_b32_e32 v12, 16, v25
	v_mul_f16_e32 v13, v88, v25
	v_fma_f16 v7, v89, v7, -v11
	v_pack_b32_f16 v4, v4, v8
	v_fmac_f16_e32 v10, v89, v24
	v_mul_f16_e32 v8, v88, v12
	v_fma_f16 v11, v85, v12, -v13
	s_wait_loadcnt 0xb
	v_lshrrev_b32_e32 v12, 16, v26
	v_mul_f16_e32 v13, v86, v26
	ds_store_2addr_b32 v83, v9, v39 offset0:35 offset1:40
	v_pack_b32_f16 v7, v10, v7
	v_fmac_f16_e32 v8, v85, v25
	v_mul_f16_e32 v9, v86, v12
	v_fma_f16 v10, v82, v12, -v13
	s_wait_loadcnt 0xa
	v_lshrrev_b32_e32 v12, 16, v27
	v_mul_f16_e32 v13, v84, v27
	v_pack_b32_f16 v8, v8, v11
	s_wait_loadcnt 0x9
	v_lshrrev_b32_e32 v11, 16, v5
	v_fmac_f16_e32 v9, v82, v26
	v_mul_f16_e32 v14, v84, v12
	v_fma_f16 v12, v79, v12, -v13
	v_mul_f16_e32 v13, v81, v5
	v_mul_f16_e32 v15, v81, v11
	v_pack_b32_f16 v9, v9, v10
	v_fmac_f16_e32 v14, v79, v27
	s_wait_loadcnt 0x8
	v_lshrrev_b32_e32 v10, 16, v6
	v_fma_f16 v11, v77, v11, -v13
	v_fmac_f16_e32 v15, v77, v5
	v_mul_f16_e32 v5, v78, v6
	v_pack_b32_f16 v12, v14, v12
	v_mul_f16_e32 v13, v78, v10
	s_wait_loadcnt 0x7
	v_lshrrev_b32_e32 v14, 16, v28
	v_pack_b32_f16 v11, v15, v11
	v_fma_f16 v5, v75, v10, -v5
	v_mul_f16_e32 v10, v76, v28
	v_fmac_f16_e32 v13, v75, v6
	v_mul_f16_e32 v6, v76, v14
	s_wait_loadcnt 0x6
	v_lshrrev_b32_e32 v15, 16, v29
	v_mul_f16_e32 v17, v71, v29
	v_fma_f16 v10, v73, v14, -v10
	v_pack_b32_f16 v5, v13, v5
	v_fmac_f16_e32 v6, v73, v28
	v_mul_f16_e32 v13, v71, v15
	v_fma_f16 v14, v69, v15, -v17
	s_wait_loadcnt 0x5
	v_lshrrev_b32_e32 v15, 16, v30
	v_mul_f16_e32 v17, v70, v30
	ds_store_b32 v83, v5 offset:40
	v_pack_b32_f16 v5, v6, v10
	v_fmac_f16_e32 v13, v69, v29
	v_mul_f16_e32 v6, v70, v15
	v_lshrrev_b32_e32 v64, 16, v63
	v_fma_f16 v10, v67, v15, -v17
	s_wait_loadcnt 0x4
	v_lshrrev_b32_e32 v15, 16, v33
	v_mul_f16_e32 v17, v68, v33
	ds_store_2addr_b32 v83, v3, v5 offset0:20 offset1:25
	v_pack_b32_f16 v3, v13, v14
	v_fmac_f16_e32 v6, v67, v30
	v_lshrrev_b32_e32 v62, 16, v61
	v_mul_f16_e32 v5, v68, v15
	v_fma_f16 v13, v66, v15, -v17
	s_wait_loadcnt 0x3
	v_lshrrev_b32_e32 v14, 16, v34
	v_mul_f16_e32 v15, v64, v34
	ds_store_2addr_b32 v83, v4, v3 offset0:50 offset1:55
	v_pack_b32_f16 v3, v6, v10
	s_wait_loadcnt 0x2
	v_lshrrev_b32_e32 v10, 16, v35
	v_lshrrev_b32_e32 v60, 16, v58
	v_mul_f16_e32 v4, v64, v14
	v_fma_f16 v6, v63, v14, -v15
	v_mul_f16_e32 v14, v62, v35
	ds_store_2addr_b32 v83, v7, v3 offset0:65 offset1:70
	s_wait_loadcnt 0x1
	v_lshrrev_b32_e32 v3, 16, v1
	v_lshrrev_b32_e32 v59, 16, v57
	s_wait_loadcnt 0x0
	v_lshrrev_b32_e32 v15, 16, v2
	v_mul_f16_e32 v7, v62, v10
	v_fma_f16 v10, v61, v10, -v14
	v_mul_f16_e32 v14, v60, v1
	v_mul_f16_e32 v17, v60, v3
	;; [unrolled: 1-line block ×4, first 2 shown]
	v_fmac_f16_e32 v5, v66, v33
	v_fmac_f16_e32 v4, v63, v34
	;; [unrolled: 1-line block ×3, first 2 shown]
	v_fma_f16 v3, v58, v3, -v14
	v_fmac_f16_e32 v17, v58, v1
	v_fma_f16 v1, v57, v15, -v18
	v_fmac_f16_e32 v19, v57, v2
	v_pack_b32_f16 v2, v5, v13
	v_pack_b32_f16 v4, v4, v6
	;; [unrolled: 1-line block ×5, first 2 shown]
	ds_store_2addr_b32 v83, v38, v2 offset0:80 offset1:85
	ds_store_2addr_b32 v83, v8, v4 offset0:95 offset1:100
	;; [unrolled: 1-line block ×5, first 2 shown]
	global_wb scope:SCOPE_SE
	s_wait_dscnt 0x0
	s_wait_kmcnt 0x0
	s_barrier_signal -1
	s_barrier_wait -1
	global_inv scope:SCOPE_SE
	ds_load_2addr_b32 v[6:7], v83 offset0:60 offset1:65
	ds_load_2addr_b32 v[4:5], v83 offset0:90 offset1:95
	;; [unrolled: 1-line block ×4, first 2 shown]
	v_mul_u32_u24_e32 v1, 10, v31
	v_add_nc_u32_e32 v33, 10, v111
	s_delay_alu instid0(VALU_DEP_2)
	v_lshl_add_u32 v122, v1, 2, v32
	ds_load_2addr_b32 v[27:28], v83 offset0:20 offset1:25
	ds_load_2addr_b32 v[10:11], v83 offset1:5
	ds_load_2addr_b32 v[29:30], v83 offset0:50 offset1:55
	ds_load_2addr_b32 v[25:26], v83 offset0:80 offset1:85
	;; [unrolled: 1-line block ×9, first 2 shown]
	global_wb scope:SCOPE_SE
	s_wait_dscnt 0x0
	s_barrier_signal -1
	s_barrier_wait -1
	global_inv scope:SCOPE_SE
	v_lshrrev_b32_e32 v38, 16, v7
	v_add_f16_e32 v34, v7, v5
	v_lshrrev_b32_e32 v35, 16, v9
	v_lshrrev_b32_e32 v36, 16, v3
	;; [unrolled: 1-line block ×3, first 2 shown]
	v_sub_f16_e32 v40, v3, v5
	v_sub_f16_e32 v41, v9, v7
	v_add_f16_e32 v42, v9, v3
	v_sub_f16_e32 v43, v5, v3
	v_sub_f16_e32 v44, v7, v9
	v_pk_add_f16 v45, v11, v9
	v_add_f16_e32 v48, v25, v23
	v_lshrrev_b32_e32 v49, 16, v29
	v_lshrrev_b32_e32 v50, 16, v21
	;; [unrolled: 1-line block ×4, first 2 shown]
	v_add_f16_e32 v55, v29, v21
	v_pk_add_f16 v125, v27, v29
	v_lshrrev_b32_e32 v46, 16, v11
	v_sub_f16_e32 v47, v7, v5
	v_sub_f16_e32 v53, v21, v23
	;; [unrolled: 1-line block ×5, first 2 shown]
	v_lshrrev_b32_e32 v126, 16, v27
	v_sub_f16_e32 v127, v25, v23
	v_fma_f16 v128, -0.5, v34, v11
	v_sub_f16_e32 v34, v35, v36
	v_sub_f16_e64 v129, v38, v39
	v_add_f16_e32 v40, v41, v40
	v_fma_f16 v41, -0.5, v42, v11
	v_add_f16_e32 v11, v44, v43
	v_pk_add_f16 v7, v45, v7
	v_add_f16_e32 v42, v38, v39
	v_sub_f16_e32 v43, v35, v38
	v_sub_f16_e32 v44, v36, v39
	v_add_f16_e32 v45, v35, v36
	v_sub_f16_e32 v35, v38, v35
	v_sub_f16_e32 v36, v39, v36
	v_fma_f16 v38, -0.5, v48, v27
	v_sub_f16_e32 v39, v49, v50
	v_fma_f16 v27, -0.5, v55, v27
	v_pk_add_f16 v25, v125, v25
	v_add_f16_e32 v55, v51, v52
	v_add_f16_e32 v125, v49, v50
	v_sub_f16_e32 v29, v29, v21
	v_sub_f16_e32 v48, v51, v52
	v_add_f16_e32 v53, v54, v53
	v_add_f16_e32 v54, v123, v56
	v_sub_f16_e32 v56, v49, v51
	v_sub_f16_e32 v123, v50, v52
	;; [unrolled: 1-line block ×4, first 2 shown]
	v_pk_add_f16 v5, v7, v5
	v_add_f16_e32 v35, v35, v36
	v_fmamk_f16 v36, v39, 0x3b9c, v38
	v_fmac_f16_e32 v38, 0xbb9c, v39
	v_pk_add_f16 v23, v25, v23
	v_fma_f16 v25, -0.5, v55, v126
	v_fmac_f16_e32 v126, -0.5, v125
	v_sub_f16_e32 v9, v9, v3
	v_fma_f16 v7, -0.5, v42, v46
	v_add_f16_e32 v42, v43, v44
	v_fmac_f16_e32 v46, -0.5, v45
	v_fmamk_f16 v43, v48, 0xbb9c, v27
	v_fmac_f16_e32 v27, 0x3b9c, v48
	v_add_f16_e32 v45, v49, v50
	v_pk_add_f16 v49, v5, v3
	v_fmac_f16_e32 v36, 0x38b4, v48
	v_fmac_f16_e32 v38, 0xb8b4, v48
	v_pk_add_f16 v48, v23, v21
	v_fmamk_f16 v5, v29, 0xbb9c, v25
	v_fmac_f16_e32 v25, 0x3b9c, v29
	v_fmamk_f16 v21, v127, 0x3b9c, v126
	v_fmac_f16_e32 v126, 0xbb9c, v127
	v_fma_f16 v51, 0x3b9c, v34, v128
	v_add_f16_e32 v44, v56, v123
	v_fmamk_f16 v50, v9, 0xbb9c, v7
	v_fmac_f16_e32 v7, 0x3b9c, v9
	v_fmac_f16_e32 v36, 0x34f2, v53
	;; [unrolled: 1-line block ×6, first 2 shown]
	v_fmac_f16_e64 v128, 0xbb9c, v34
	v_fma_f16 v52, 0xbb9c, v129, v41
	v_fmac_f16_e64 v51, 0x38b4, v129
	v_fmamk_f16 v55, v47, 0x3b9c, v46
	v_fmac_f16_e32 v46, 0xbb9c, v47
	v_fmac_f16_e32 v43, 0x38b4, v39
	v_fmac_f16_e32 v27, 0xb8b4, v39
	v_fmac_f16_e32 v50, 0xb8b4, v47
	v_fmac_f16_e32 v7, 0x38b4, v47
	v_fmac_f16_e32 v38, 0x34f2, v53
	v_fmac_f16_e32 v5, 0x34f2, v44
	v_fmac_f16_e32 v25, 0x34f2, v44
	v_fmac_f16_e32 v21, 0x34f2, v45
	v_fmac_f16_e32 v126, 0x34f2, v45
	v_mul_f16_e32 v39, 0x3a79, v36
	v_fmac_f16_e64 v41, 0x3b9c, v129
	v_fmac_f16_e64 v128, 0xb8b4, v129
	v_fmac_f16_e32 v52, 0x38b4, v34
	v_fmac_f16_e32 v51, 0x34f2, v40
	;; [unrolled: 1-line block ×7, first 2 shown]
	v_mul_f16_e32 v42, 0xba79, v38
	v_mul_f16_e32 v44, 0xb8b4, v36
	v_fmac_f16_e32 v39, 0x38b4, v5
	v_mul_f16_e32 v36, 0x3b9c, v21
	v_mul_f16_e32 v47, 0xb4f2, v126
	;; [unrolled: 1-line block ×3, first 2 shown]
	v_fmac_f16_e32 v41, 0xb8b4, v34
	v_fmac_f16_e64 v128, 0x34f2, v40
	v_fmac_f16_e32 v52, 0x34f2, v11
	v_fmac_f16_e32 v55, 0xb8b4, v9
	;; [unrolled: 1-line block ×3, first 2 shown]
	v_mul_f16_e32 v40, 0xb4f2, v27
	v_mul_f16_e32 v45, 0xbb9c, v43
	v_fmac_f16_e32 v42, 0x38b4, v25
	v_add_f16_e32 v9, v51, v39
	v_fmac_f16_e32 v36, 0x34f2, v43
	v_fmac_f16_e32 v47, 0xbb9c, v27
	v_fmac_f16_e32 v53, 0xb8b4, v38
	v_sub_f16_e32 v27, v51, v39
	v_add_f16_e32 v39, v17, v14
	v_lshrrev_b32_e32 v43, 16, v19
	v_lshrrev_b32_e32 v51, 16, v12
	v_fmac_f16_e32 v41, 0x34f2, v11
	v_fmac_f16_e32 v55, 0x34f2, v35
	;; [unrolled: 1-line block ×5, first 2 shown]
	v_add_f16_e64 v5, v128, v42
	v_add_f16_e32 v29, v52, v36
	v_add_f16_e32 v38, v46, v47
	;; [unrolled: 1-line block ×3, first 2 shown]
	v_sub_f16_e32 v36, v52, v36
	v_sub_f16_e64 v25, v128, v42
	v_fma_f16 v52, -0.5, v39, v0
	v_sub_f16_e32 v54, v43, v51
	v_lshrrev_b32_e32 v56, 16, v17
	v_lshrrev_b32_e32 v125, 16, v14
	v_sub_f16_e32 v39, v46, v47
	v_sub_f16_e32 v46, v12, v14
	;; [unrolled: 1-line block ×4, first 2 shown]
	v_add_f16_e32 v7, v19, v12
	v_add_f16_e32 v23, v41, v40
	;; [unrolled: 1-line block ×4, first 2 shown]
	v_sub_f16_e32 v21, v41, v40
	v_sub_f16_e32 v40, v50, v44
	v_sub_f16_e32 v41, v55, v45
	v_fmamk_f16 v44, v54, 0x3b9c, v52
	v_sub_f16_e32 v45, v56, v125
	v_mul_u32_u24_e32 v50, 10, v33
	v_add_f16_e32 v46, v47, v46
	v_fmac_f16_e32 v52, 0xbb9c, v54
	v_fma_f16 v47, -0.5, v7, v0
	v_pk_add_f16 v3, v49, v48
	v_fmac_f16_e32 v44, 0x38b4, v45
	v_pk_add_f16 v7, v49, v48 neg_lo:[0,1] neg_hi:[0,1]
	v_lshl_add_u32 v123, v50, 2, v32
	v_fmac_f16_e32 v52, 0xb8b4, v45
	v_fmamk_f16 v48, v45, 0xbb9c, v47
	v_sub_f16_e32 v49, v14, v12
	v_sub_f16_e32 v50, v17, v19
	v_fmac_f16_e32 v47, 0x3b9c, v45
	v_pk_add_f16 v45, v0, v19
	v_add_f16_e32 v53, v56, v125
	v_lshrrev_b32_e32 v55, 16, v0
	v_fmac_f16_e32 v48, 0x38b4, v54
	v_add_f16_e32 v0, v50, v49
	v_fmac_f16_e32 v47, 0xb8b4, v54
	v_pk_add_f16 v45, v45, v17
	v_fma_f16 v49, -0.5, v53, v55
	v_sub_f16_e32 v19, v19, v12
	v_fmac_f16_e32 v44, 0x34f2, v46
	v_fmac_f16_e32 v52, 0x34f2, v46
	;; [unrolled: 1-line block ×4, first 2 shown]
	v_pk_add_f16 v0, v45, v14
	v_fmamk_f16 v45, v19, 0xbb9c, v49
	v_add_f16_e32 v46, v43, v51
	v_sub_f16_e32 v14, v17, v14
	v_sub_f16_e32 v17, v43, v56
	;; [unrolled: 1-line block ×3, first 2 shown]
	v_fmac_f16_e32 v49, 0x3b9c, v19
	v_fmac_f16_e32 v55, -0.5, v46
	v_pk_add_f16 v0, v0, v12
	v_fmac_f16_e32 v45, 0xb8b4, v14
	v_add_f16_e32 v12, v17, v50
	v_fmac_f16_e32 v49, 0x38b4, v14
	v_add_f16_e32 v46, v26, v24
	v_lshrrev_b32_e32 v50, 16, v30
	v_lshrrev_b32_e32 v53, 16, v22
	v_sub_f16_e32 v43, v56, v43
	v_sub_f16_e32 v51, v125, v51
	v_fmamk_f16 v17, v14, 0x3b9c, v55
	v_fmac_f16_e32 v45, 0x34f2, v12
	v_fmac_f16_e32 v49, 0x34f2, v12
	v_fma_f16 v46, -0.5, v46, v28
	v_sub_f16_e32 v12, v50, v53
	v_lshrrev_b32_e32 v54, 16, v26
	v_lshrrev_b32_e32 v126, 16, v24
	v_fmac_f16_e32 v55, 0xbb9c, v14
	v_add_f16_e32 v43, v43, v51
	v_add_f16_e32 v51, v30, v22
	v_fmac_f16_e32 v17, 0xb8b4, v19
	v_fmamk_f16 v14, v12, 0x3b9c, v46
	v_sub_f16_e32 v56, v54, v126
	v_sub_f16_e32 v125, v22, v24
	;; [unrolled: 1-line block ×3, first 2 shown]
	v_fmac_f16_e32 v55, 0x38b4, v19
	v_fmac_f16_e32 v46, 0xbb9c, v12
	v_fma_f16 v51, -0.5, v51, v28
	v_fmac_f16_e32 v14, 0x38b4, v56
	v_add_f16_e32 v19, v127, v125
	v_fmac_f16_e32 v17, 0x34f2, v43
	v_fmac_f16_e32 v55, 0x34f2, v43
	;; [unrolled: 1-line block ×3, first 2 shown]
	v_fmamk_f16 v43, v56, 0xbb9c, v51
	v_sub_f16_e32 v125, v24, v22
	v_sub_f16_e32 v127, v26, v30
	v_fmac_f16_e32 v51, 0x3b9c, v56
	v_add_f16_e32 v56, v54, v126
	v_lshrrev_b32_e32 v128, 16, v28
	v_fmac_f16_e32 v43, 0x38b4, v12
	v_add_f16_e32 v125, v127, v125
	v_fmac_f16_e32 v51, 0xb8b4, v12
	v_fmac_f16_e32 v14, 0x34f2, v19
	v_fma_f16 v12, -0.5, v56, v128
	v_add_f16_e32 v56, v50, v53
	v_fmac_f16_e32 v46, 0x34f2, v19
	v_sub_f16_e32 v19, v30, v22
	v_fmac_f16_e32 v43, 0x34f2, v125
	v_pk_add_f16 v28, v28, v30
	v_fmac_f16_e32 v51, 0x34f2, v125
	v_sub_f16_e32 v125, v26, v24
	v_fmac_f16_e64 v128, -0.5, v56
	v_fmamk_f16 v30, v19, 0xbb9c, v12
	v_pk_add_f16 v26, v28, v26
	v_sub_f16_e32 v28, v50, v54
	v_sub_f16_e32 v56, v53, v126
	v_fma_f16 v127, 0x3b9c, v125, v128
	v_sub_f16_e32 v50, v54, v50
	v_sub_f16_e32 v53, v126, v53
	v_fmac_f16_e32 v12, 0x3b9c, v19
	v_fmac_f16_e64 v128, 0xbb9c, v125
	v_fmac_f16_e32 v30, 0xb8b4, v125
	v_add_f16_e32 v28, v28, v56
	v_fmac_f16_e32 v127, 0xb8b4, v19
	v_add_f16_e32 v50, v50, v53
	v_fmac_f16_e32 v12, 0x38b4, v125
	v_fmac_f16_e64 v128, 0x38b4, v19
	v_fmac_f16_e32 v30, 0x34f2, v28
	v_mul_f16_e32 v19, 0x3a79, v14
	v_fmac_f16_e32 v127, 0x34f2, v50
	v_fmac_f16_e32 v12, 0x34f2, v28
	v_fmac_f16_e64 v128, 0x34f2, v50
	v_mul_f16_e32 v14, 0xb8b4, v14
	v_pk_add_f16 v24, v26, v24
	v_fmac_f16_e32 v19, 0x38b4, v30
	v_mul_f16_e32 v26, 0x3b9c, v127
	v_mul_f16_e32 v28, 0xb4f2, v51
	v_mul_f16_e32 v50, 0xba79, v46
	v_fmac_f16_e32 v14, 0x3a79, v30
	v_mul_f16_e64 v30, 0xb4f2, v128
	v_mul_f16_e32 v125, 0xba79, v12
	v_fmac_f16_e32 v26, 0x34f2, v43
	v_fmac_f16_e64 v28, 0x3b9c, v128
	v_fmac_f16_e32 v50, 0x38b4, v12
	v_mul_f16_e32 v43, 0xbb9c, v43
	v_fmac_f16_e32 v30, 0xbb9c, v51
	v_fmac_f16_e32 v125, 0xb8b4, v46
	v_add_f16_e32 v46, v6, v4
	v_lshrrev_b32_e32 v51, 16, v8
	v_lshrrev_b32_e32 v128, 16, v2
	v_pk_add_f16 v22, v24, v22
	v_add_f16_e32 v24, v44, v19
	v_add_f16_e32 v54, v47, v28
	;; [unrolled: 1-line block ×3, first 2 shown]
	v_fmac_f16_e32 v43, 0x34f2, v127
	v_sub_f16_e64 v131, v44, v19
	v_fma_f16 v19, -0.5, v46, v10
	v_sub_f16_e64 v44, v51, v128
	v_lshrrev_b32_e32 v46, 16, v6
	v_lshrrev_b32_e32 v132, 16, v4
	v_sub_f16_e32 v28, v47, v28
	v_sub_f16_e32 v47, v52, v50
	;; [unrolled: 1-line block ×3, first 2 shown]
	v_sub_f16_e64 v133, v8, v6
	v_add_f16_e64 v134, v8, v2
	v_add_f16_e32 v53, v48, v26
	v_add_f16_e32 v126, v45, v14
	;; [unrolled: 1-line block ×3, first 2 shown]
	v_add_f16_e64 v130, v49, v125
	v_sub_f16_e32 v26, v48, v26
	v_fmamk_f16 v48, v44, 0x3b9c, v19
	v_sub_f16_e64 v50, v46, v132
	v_sub_f16_e32 v45, v45, v14
	v_sub_f16_e64 v135, v17, v43
	v_add_f16_e64 v14, v133, v52
	v_fma_f16 v17, -0.5, v134, v10
	v_sub_f16_e32 v49, v49, v125
	v_fmac_f16_e32 v19, 0xbb9c, v44
	v_add_f16_e64 v125, v46, v132
	v_lshrrev_b32_e32 v133, 16, v10
	v_add_f16_e64 v129, v55, v30
	v_fmac_f16_e32 v48, 0x38b4, v50
	v_sub_f16_e32 v30, v55, v30
	v_fmamk_f16 v43, v50, 0xbb9c, v17
	v_sub_f16_e32 v52, v4, v2
	v_sub_f16_e32 v55, v6, v8
	v_fmac_f16_e32 v19, 0xb8b4, v50
	v_fmac_f16_e32 v17, 0x3b9c, v50
	v_pk_add_f16 v10, v10, v8
	v_fma_f16 v50, -0.5, v125, v133
	v_sub_f16_e32 v8, v8, v2
	v_fmac_f16_e32 v48, 0x34f2, v14
	v_fmac_f16_e32 v43, 0x38b4, v44
	v_add_f16_e32 v52, v55, v52
	v_fmac_f16_e32 v19, 0x34f2, v14
	v_fmac_f16_e32 v17, 0xb8b4, v44
	v_pk_add_f16 v10, v10, v6
	v_fmamk_f16 v14, v8, 0xbb9c, v50
	v_sub_f16_e32 v6, v6, v4
	v_sub_f16_e32 v44, v51, v46
	v_sub_f16_e64 v55, v128, v132
	v_fmac_f16_e32 v50, 0x3b9c, v8
	v_pk_add_f16 v4, v10, v4
	v_fmac_f16_e32 v14, 0xb8b4, v6
	v_fmac_f16_e32 v43, 0x34f2, v52
	v_add_f16_e32 v10, v44, v55
	v_fmac_f16_e32 v50, 0x38b4, v6
	v_add_f16_e64 v125, v51, v128
	v_fmac_f16_e32 v17, 0x34f2, v52
	v_lshrrev_b32_e32 v44, 16, v20
	v_fmac_f16_e32 v14, 0x34f2, v10
	v_fmac_f16_e32 v50, 0x34f2, v10
	v_add_f16_e32 v10, v18, v15
	v_lshrrev_b32_e32 v52, 16, v13
	v_fmac_f16_e64 v133, -0.5, v125
	v_sub_f16_e32 v46, v46, v51
	v_sub_f16_e64 v51, v132, v128
	v_fma_f16 v10, -0.5, v10, v1
	v_sub_f16_e32 v55, v44, v52
	v_lshrrev_b32_e32 v125, 16, v18
	v_lshrrev_b32_e32 v128, 16, v15
	v_pk_add_f16 v4, v4, v2
	v_fma_f16 v2, 0x3b9c, v6, v133
	v_add_f16_e32 v46, v46, v51
	v_fmac_f16_e64 v133, 0xbb9c, v6
	v_fmamk_f16 v6, v55, 0x3b9c, v10
	v_add_f16_e32 v51, v20, v13
	v_sub_f16_e64 v132, v125, v128
	v_sub_f16_e64 v134, v13, v15
	;; [unrolled: 1-line block ×3, first 2 shown]
	v_fmac_f16_e32 v10, 0xbb9c, v55
	v_fmac_f16_e32 v2, 0xb8b4, v8
	v_fma_f16 v51, -0.5, v51, v1
	v_fmac_f16_e64 v133, 0x38b4, v8
	v_fmac_f16_e64 v6, 0x38b4, v132
	v_add_f16_e64 v8, v136, v134
	v_sub_f16_e64 v136, v15, v13
	v_sub_f16_e64 v137, v18, v20
	v_fmac_f16_e64 v10, 0xb8b4, v132
	v_fmac_f16_e32 v2, 0x34f2, v46
	v_fma_f16 v134, 0xbb9c, v132, v51
	v_fmac_f16_e64 v133, 0x34f2, v46
	v_fmac_f16_e32 v6, 0x34f2, v8
	v_add_f16_e64 v46, v137, v136
	v_fmac_f16_e64 v51, 0x3b9c, v132
	v_add_f16_e64 v132, v125, v128
	v_lshrrev_b32_e32 v136, 16, v1
	v_fmac_f16_e32 v10, 0x34f2, v8
	v_add_f16_e32 v8, v44, v52
	v_fmac_f16_e64 v134, 0x38b4, v55
	v_fmac_f16_e32 v51, 0xb8b4, v55
	v_fma_f16 v55, -0.5, v132, v136
	v_sub_f16_e64 v137, v18, v15
	v_fmac_f16_e64 v136, -0.5, v8
	v_fmac_f16_e64 v134, 0x34f2, v46
	v_sub_f16_e64 v132, v20, v13
	v_fmac_f16_e32 v51, 0x34f2, v46
	v_pk_add_f16 v1, v1, v20
	v_sub_f16_e32 v20, v44, v125
	v_fma_f16 v46, 0x3b9c, v137, v136
	v_sub_f16_e32 v44, v125, v44
	v_sub_f16_e64 v125, v128, v52
	v_fmac_f16_e64 v136, 0xbb9c, v137
	v_fma_f16 v8, 0xbb9c, v132, v55
	v_fmac_f16_e64 v46, 0xb8b4, v132
	v_sub_f16_e64 v52, v52, v128
	v_add_f16_e32 v44, v44, v125
	v_fmac_f16_e64 v55, 0x3b9c, v132
	v_fmac_f16_e64 v136, 0x38b4, v132
	v_pk_add_f16 v1, v1, v18
	v_add_f16_e32 v20, v20, v52
	v_fmac_f16_e32 v46, 0x34f2, v44
	v_fmac_f16_e64 v55, 0x38b4, v137
	v_fmac_f16_e64 v8, 0xb8b4, v137
	;; [unrolled: 1-line block ×3, first 2 shown]
	v_pk_add_f16 v1, v1, v15
	v_mul_f16_e32 v44, 0x3b9c, v46
	v_fmac_f16_e32 v55, 0x34f2, v20
	v_mul_f16_e32 v15, 0xba79, v10
	v_fmac_f16_e32 v8, 0x34f2, v20
	v_mul_f16_e32 v18, 0x3a79, v6
	v_mul_f16_e32 v52, 0xb4f2, v51
	v_fmac_f16_e64 v44, 0x34f2, v134
	v_mul_f16_e32 v6, 0xb8b4, v6
	v_mul_f16_e64 v132, 0xbb9c, v134
	v_mul_f16_e64 v134, 0xb4f2, v136
	v_fmac_f16_e32 v15, 0x38b4, v55
	v_mul_f16_e32 v55, 0xba79, v55
	v_fmac_f16_e32 v18, 0x38b4, v8
	v_fmac_f16_e64 v52, 0x3b9c, v136
	v_fmac_f16_e32 v6, 0x3a79, v8
	v_fmac_f16_e64 v132, 0x34f2, v46
	v_fmac_f16_e64 v134, 0xbb9c, v51
	v_fmac_f16_e32 v55, 0xb8b4, v10
	v_pk_add_f16 v20, v1, v13
	v_add_f16_e32 v13, v48, v18
	v_add_f16_e32 v125, v43, v44
	v_add_f16_e64 v128, v17, v52
	v_add_f16_e32 v8, v14, v6
	v_add_f16_e64 v10, v2, v132
	v_add_f16_e64 v46, v133, v134
	;; [unrolled: 1-line block ×3, first 2 shown]
	v_add_f16_e32 v51, v50, v55
	v_sub_f16_e32 v48, v48, v18
	v_sub_f16_e32 v43, v43, v44
	;; [unrolled: 1-line block ×4, first 2 shown]
	v_sub_f16_e64 v17, v2, v132
	v_sub_f16_e32 v15, v19, v15
	v_sub_f16_e64 v132, v133, v134
	v_sub_f16_e32 v44, v50, v55
	v_pk_add_f16 v1, v4, v20
	v_pack_b32_f16 v2, v13, v8
	v_pack_b32_f16 v14, v128, v46
	;; [unrolled: 1-line block ×3, first 2 shown]
	v_pk_add_f16 v18, v4, v20 neg_lo:[0,1] neg_hi:[0,1]
	v_pack_b32_f16 v19, v48, v6
	v_pack_b32_f16 v20, v43, v17
	;; [unrolled: 1-line block ×5, first 2 shown]
	ds_store_2addr_b64 v124, v[1:2], v[13:14] offset1:1
	ds_store_2addr_b64 v124, v[17:18], v[19:20] offset0:2 offset1:3
	ds_store_b64 v124, v[43:44] offset:32
	v_pack_b32_f16 v4, v9, v34
	v_pack_b32_f16 v2, v23, v38
	v_pack_b32_f16 v1, v29, v35
	v_add_co_u32 v23, null, v111, 20
	v_pack_b32_f16 v8, v27, v40
	v_pack_b32_f16 v9, v36, v41
	;; [unrolled: 1-line block ×5, first 2 shown]
	v_pk_add_f16 v12, v0, v22
	v_pack_b32_f16 v13, v24, v126
	v_pack_b32_f16 v15, v54, v129
	;; [unrolled: 1-line block ×3, first 2 shown]
	v_pk_add_f16 v18, v0, v22 neg_lo:[0,1] neg_hi:[0,1]
	v_pack_b32_f16 v19, v131, v45
	v_pack_b32_f16 v20, v26, v135
	;; [unrolled: 1-line block ×5, first 2 shown]
	ds_store_2addr_b64 v122, v[3:4], v[1:2] offset1:1
	ds_store_2addr_b64 v122, v[6:7], v[8:9] offset0:2 offset1:3
	ds_store_b64 v122, v[10:11] offset:32
	ds_store_2addr_b64 v123, v[12:13], v[14:15] offset1:1
	ds_store_2addr_b64 v123, v[17:18], v[19:20] offset0:2 offset1:3
	ds_store_b64 v123, v[21:22] offset:32
	v_and_b32_e32 v4, 0xff, v23
	v_add_co_u32 v25, null, v111, 25
	v_lshlrev_b32_e32 v0, 4, v111
	global_wb scope:SCOPE_SE
	s_wait_dscnt 0x0
	v_mul_lo_u16 v4, 0xcd, v4
	v_and_b32_e32 v5, 0xff, v25
	s_barrier_signal -1
	s_barrier_wait -1
	global_inv scope:SCOPE_SE
	v_lshrrev_b16 v4, 11, v4
	v_mul_lo_u16 v5, 0xcd, v5
	global_load_b128 v[12:15], v0, s[10:11]
	v_mul_lo_u16 v4, v4, 10
	s_delay_alu instid0(VALU_DEP_1) | instskip(SKIP_2) | instid1(VALU_DEP_3)
	v_sub_nc_u16 v20, v23, v4
	v_lshrrev_b16 v4, 11, v5
	v_lshlrev_b32_e32 v23, 3, v23
	v_lshlrev_b16 v5, 2, v20
	s_delay_alu instid0(VALU_DEP_3) | instskip(NEXT) | instid1(VALU_DEP_2)
	v_mul_lo_u16 v4, v4, 10
	v_and_b32_e32 v5, 0xfc, v5
	s_delay_alu instid0(VALU_DEP_2) | instskip(SKIP_1) | instid1(VALU_DEP_3)
	v_sub_nc_u16 v19, v25, v4
	v_lshlrev_b32_e32 v25, 3, v25
	v_lshlrev_b32_e32 v4, 2, v5
	s_delay_alu instid0(VALU_DEP_3)
	v_lshlrev_b16 v5, 2, v19
	global_load_b128 v[8:11], v4, s[10:11]
	v_lshlrev_b32_e32 v0, 4, v31
	v_and_b32_e32 v4, 0xfc, v5
	global_load_b128 v[0:3], v0, s[10:11]
	v_lshlrev_b32_e32 v4, 2, v4
	global_load_b128 v[4:7], v4, s[10:11]
	ds_load_2addr_b32 v[21:22], v83 offset0:30 offset1:35
	ds_load_2addr_b32 v[26:27], v83 offset0:60 offset1:65
	;; [unrolled: 1-line block ×8, first 2 shown]
	ds_load_2addr_b32 v[17:18], v83 offset1:5
	ds_load_2addr_b32 v[46:47], v83 offset0:50 offset1:55
	ds_load_2addr_b32 v[51:52], v83 offset0:80 offset1:85
	ds_load_2addr_b32 v[145:146], v83 offset0:110 offset1:115
	ds_load_2addr_b32 v[161:162], v83 offset0:140 offset1:145
	s_wait_dscnt 0xc
	v_lshrrev_b32_e32 v24, 16, v21
	v_lshrrev_b32_e32 v49, 16, v22
	s_wait_dscnt 0xa
	v_lshrrev_b32_e32 v36, 16, v28
	s_wait_dscnt 0x9
	v_lshrrev_b32_e32 v54, 16, v35
	v_lshrrev_b32_e32 v30, 16, v26
	s_wait_dscnt 0x7
	v_lshrrev_b32_e32 v56, 16, v40
	v_lshrrev_b32_e32 v55, 16, v38
	v_lshrrev_b32_e32 v128, 16, v39
	v_lshrrev_b32_e32 v48, 16, v34
	s_wait_dscnt 0x6
	v_lshrrev_b32_e32 v125, 16, v42
	v_lshrrev_b32_e32 v130, 16, v43
	;; [unrolled: 5-line block ×3, first 2 shown]
	v_lshrrev_b32_e32 v132, 16, v45
	s_wait_dscnt 0x2
	v_lshrrev_b32_e32 v150, 16, v51
	v_lshrrev_b32_e32 v53, 16, v29
	s_wait_dscnt 0x1
	v_lshrrev_b32_e32 v154, 16, v145
	v_lshrrev_b32_e32 v164, 16, v47
	;; [unrolled: 1-line block ×3, first 2 shown]
	s_wait_dscnt 0x0
	v_lshrrev_b32_e32 v167, 16, v162
	v_lshrrev_b32_e32 v165, 16, v52
	;; [unrolled: 1-line block ×3, first 2 shown]
	s_wait_loadcnt 0x3
	v_lshrrev_b32_e32 v141, 16, v12
	v_lshrrev_b32_e32 v140, 16, v14
	;; [unrolled: 1-line block ×4, first 2 shown]
	s_delay_alu instid0(VALU_DEP_4) | instskip(SKIP_1) | instid1(VALU_DEP_4)
	v_mul_f16_e64 v127, v24, v141
	v_mul_f16_e64 v168, v21, v141
	;; [unrolled: 1-line block ×5, first 2 shown]
	v_fma_f16 v169, v21, v12, -v127
	v_mul_f16_e64 v21, v36, v140
	v_fma_f16 v171, v26, v13, -v131
	v_fmac_f16_e64 v168, v24, v12
	v_mul_f16_e64 v24, v48, v137
	v_fmac_f16_e64 v147, v55, v12
	v_fma_f16 v174, v28, v14, -v21
	v_mul_f16_e64 v149, v40, v139
	v_mul_f16_e64 v148, v42, v140
	v_fma_f16 v175, v34, v15, -v24
	v_mul_f16_e64 v151, v44, v137
	v_fmac_f16_e64 v173, v48, v15
	v_fmac_f16_e64 v149, v56, v13
	;; [unrolled: 1-line block ×3, first 2 shown]
	v_mul_f16_e64 v170, v26, v139
	v_fmac_f16_e64 v151, v126, v15
	v_mul_f16_e64 v172, v28, v140
	s_wait_loadcnt 0x2
	v_lshrrev_b32_e32 v133, 16, v8
	v_lshrrev_b32_e32 v134, 16, v9
	v_fmac_f16_e64 v170, v30, v13
	v_fmac_f16_e64 v172, v36, v14
	s_wait_loadcnt 0x1
	v_lshrrev_b32_e32 v136, 16, v0
	v_lshrrev_b32_e32 v127, 16, v3
	;; [unrolled: 1-line block ×4, first 2 shown]
	s_delay_alu instid0(VALU_DEP_4) | instskip(SKIP_1) | instid1(VALU_DEP_4)
	v_mul_f16_e64 v21, v49, v136
	v_mul_f16_e64 v157, v22, v136
	;; [unrolled: 1-line block ×5, first 2 shown]
	v_fma_f16 v176, v22, v0, -v21
	v_mul_f16_e32 v21, v54, v127
	v_mul_f16_e64 v22, v55, v141
	v_fmac_f16_e64 v158, v50, v1
	v_mul_f16_e64 v50, v41, v135
	v_mul_f16_e32 v55, v45, v127
	v_fma_f16 v179, v35, v3, -v21
	v_mul_f16_e64 v21, v56, v139
	v_fma_f16 v152, v38, v12, -v22
	v_mul_f16_e64 v22, v125, v140
	;; [unrolled: 2-line block ×5, first 2 shown]
	v_mul_f16_e64 v48, v39, v136
	v_fmac_f16_e64 v50, v129, v1
	v_fma_f16 v143, v39, v0, -v21
	v_mul_f16_e64 v21, v130, v131
	v_fma_f16 v56, v41, v1, -v22
	v_mul_f16_e64 v22, v132, v127
	v_fmac_f16_e64 v55, v132, v3
	v_lshrrev_b32_e32 v132, 16, v10
	v_fma_f16 v138, v43, v2, -v21
	v_mul_f16_e64 v21, v142, v133
	s_wait_loadcnt 0x0
	v_lshrrev_b32_e32 v125, 16, v4
	v_lshrrev_b32_e32 v129, 16, v6
	;; [unrolled: 1-line block ×3, first 2 shown]
	v_mul_f16_e64 v26, v53, v131
	v_fma_f16 v42, v46, v8, -v21
	v_mul_f16_e64 v21, v150, v134
	v_fmac_f16_e64 v159, v53, v2
	v_fmac_f16_e64 v48, v128, v0
	v_mul_f16_e64 v53, v43, v131
	v_fma_f16 v144, v45, v3, -v22
	v_mul_f16_e64 v22, v154, v132
	v_fma_f16 v43, v51, v9, -v21
	v_mul_f16_e64 v21, v164, v125
	v_lshrrev_b32_e32 v128, 16, v5
	v_mul_f16_e64 v27, v166, v129
	v_mul_f16_e64 v34, v167, v126
	v_fma_f16 v178, v29, v2, -v26
	v_fma_f16 v156, v44, v15, -v24
	v_fmac_f16_e64 v53, v130, v2
	v_lshrrev_b32_e32 v130, 16, v11
	v_fma_f16 v45, v145, v10, -v22
	v_fma_f16 v22, v47, v4, -v21
	v_mul_f16_e32 v21, v47, v125
	v_mul_f16_e64 v24, v165, v128
	v_fma_f16 v29, v146, v6, -v27
	v_add_f16_e64 v27, v171, v174
	v_fma_f16 v36, v162, v7, -v34
	v_sub_f16_e64 v34, v169, v171
	v_sub_f16_e64 v40, v175, v174
	v_add_f16_e64 v47, v169, v175
	v_fmac_f16_e64 v157, v49, v0
	v_mul_f16_e64 v160, v35, v127
	v_mul_f16_e64 v38, v46, v133
	v_fma_f16 v26, v52, v5, -v24
	v_mul_f16_e64 v24, v52, v128
	v_mul_f16_e64 v30, v163, v130
	v_fma_f16 v27, -0.5, v27, v17
	v_sub_f16_e64 v46, v168, v173
	v_sub_f16_e64 v49, v170, v172
	v_add_f16_e32 v52, v34, v40
	v_fma_f16 v34, -0.5, v47, v17
	v_fmac_f16_e64 v160, v54, v3
	v_mul_f16_e64 v39, v51, v134
	v_fmac_f16_e64 v38, v142, v8
	v_fma_f16 v51, v161, v11, -v30
	v_fmamk_f16 v30, v46, 0x3b9c, v27
	v_fmac_f16_e32 v27, 0xbb9c, v46
	v_sub_f16_e64 v47, v171, v169
	v_sub_f16_e64 v54, v174, v175
	v_add_f16_e64 v142, v17, v169
	v_fmamk_f16 v40, v49, 0xbb9c, v34
	v_fmac_f16_e32 v34, 0x3b9c, v49
	v_fmac_f16_e32 v30, 0x38b4, v49
	;; [unrolled: 1-line block ×3, first 2 shown]
	v_add_f16_e32 v47, v47, v54
	v_add_f16_e64 v49, v142, v171
	v_fmac_f16_e32 v40, 0x38b4, v46
	v_fmac_f16_e32 v34, 0xb8b4, v46
	v_lshrrev_b32_e32 v17, 16, v17
	v_fmac_f16_e64 v39, v150, v9
	v_add_f16_e64 v46, v49, v174
	v_fmac_f16_e32 v40, 0x34f2, v47
	v_fmac_f16_e32 v34, 0x34f2, v47
	v_add_f16_e64 v47, v17, v168
	v_add_f16_e64 v49, v170, v172
	v_mul_f16_e64 v41, v145, v132
	v_fmac_f16_e32 v30, 0x34f2, v52
	v_fmac_f16_e32 v27, 0x34f2, v52
	v_sub_f16_e64 v142, v169, v175
	v_sub_f16_e64 v52, v168, v170
	v_sub_f16_e64 v54, v173, v172
	v_add_f16_e64 v145, v47, v170
	v_fma_f16 v47, -0.5, v49, v17
	v_add_f16_e64 v150, v168, v173
	v_fmac_f16_e64 v41, v154, v10
	v_mul_f16_e64 v28, v146, v129
	v_sub_f16_e64 v146, v171, v174
	v_add_f16_e64 v154, v52, v54
	v_add_f16_e64 v52, v145, v172
	v_fma_f16 v49, 0xbb9c, v142, v47
	v_fmac_f16_e64 v47, 0x3b9c, v142
	v_fmac_f16_e64 v17, -0.5, v150
	v_sub_f16_e64 v145, v170, v168
	v_sub_f16_e64 v150, v172, v173
	v_fmac_f16_e64 v49, 0xb8b4, v146
	v_fmac_f16_e64 v47, 0x38b4, v146
	v_fma_f16 v54, 0x3b9c, v146, v17
	v_fmac_f16_e64 v17, 0xbb9c, v146
	v_add_f16_e64 v150, v145, v150
	v_add_f16_e64 v145, v177, v178
	v_mul_f16_e64 v44, v161, v130
	v_fmac_f16_e64 v49, 0x34f2, v154
	v_fmac_f16_e64 v47, 0x34f2, v154
	v_sub_f16_e64 v146, v176, v177
	v_sub_f16_e64 v154, v179, v178
	v_fmac_f16_e64 v54, 0xb8b4, v142
	v_fmac_f16_e64 v17, 0x38b4, v142
	v_fma_f16 v142, -0.5, v145, v18
	v_sub_f16_e64 v161, v157, v160
	v_fmac_f16_e64 v21, v164, v4
	v_add_f16_e64 v154, v146, v154
	v_add_f16_e64 v146, v176, v179
	v_sub_f16_e64 v164, v158, v159
	v_fma_f16 v145, 0x3b9c, v161, v142
	v_fmac_f16_e64 v142, 0xbb9c, v161
	v_fmac_f16_e64 v44, v163, v11
	v_mul_f16_e64 v35, v162, v126
	v_lshrrev_b32_e32 v163, 16, v18
	v_add_f16_e64 v162, v18, v176
	v_fmac_f16_e64 v18, -0.5, v146
	v_fmac_f16_e64 v145, 0x38b4, v164
	v_fmac_f16_e64 v142, 0xb8b4, v164
	;; [unrolled: 1-line block ×4, first 2 shown]
	v_sub_f16_e64 v165, v177, v176
	v_sub_f16_e64 v166, v178, v179
	v_fma_f16 v146, 0xbb9c, v164, v18
	v_fmac_f16_e64 v18, 0x3b9c, v164
	v_add_f16_e64 v162, v162, v177
	v_fmac_f16_e64 v145, 0x34f2, v154
	v_fmac_f16_e64 v142, 0x34f2, v154
	v_add_f16_e64 v154, v158, v159
	v_add_f16_e64 v168, v163, v157
	;; [unrolled: 1-line block ×4, first 2 shown]
	v_fmac_f16_e64 v146, 0x38b4, v161
	v_fmac_f16_e64 v18, 0xb8b4, v161
	;; [unrolled: 1-line block ×4, first 2 shown]
	v_add_f16_e64 v150, v162, v178
	v_sub_f16_e64 v165, v177, v178
	v_fma_f16 v154, -0.5, v154, v163
	ds_load_2addr_b32 v[161:162], v83 offset0:10 offset1:15
	v_add_f16_e64 v168, v168, v158
	v_fmac_f16_e64 v163, -0.5, v169
	v_fmac_f16_e64 v35, v167, v7
	v_fmac_f16_e64 v146, 0x34f2, v164
	;; [unrolled: 1-line block ×3, first 2 shown]
	v_sub_f16_e64 v164, v176, v179
	v_sub_f16_e64 v166, v157, v158
	;; [unrolled: 1-line block ×4, first 2 shown]
	v_add_f16_e64 v158, v168, v159
	v_fma_f16 v168, 0x3b9c, v165, v163
	v_sub_f16_e64 v159, v159, v160
	v_fmac_f16_e64 v163, 0xbb9c, v165
	v_add_f16_e64 v166, v166, v167
	v_fma_f16 v167, 0xbb9c, v164, v154
	v_fmac_f16_e64 v154, 0x3b9c, v164
	v_add_f16_e64 v157, v157, v159
	v_fmac_f16_e64 v163, 0x38b4, v164
	v_add_f16_e64 v158, v158, v160
	v_fmac_f16_e64 v167, 0xb8b4, v165
	v_fmac_f16_e64 v154, 0x38b4, v165
	v_add_f16_e64 v160, v153, v155
	v_fmac_f16_e64 v168, 0xb8b4, v164
	v_fmac_f16_e64 v163, 0x34f2, v157
	v_sub_f16_e64 v164, v152, v153
	v_sub_f16_e64 v165, v156, v155
	v_add_f16_e64 v169, v152, v156
	s_wait_dscnt 0x0
	v_fma_f16 v159, -0.5, v160, v161
	v_sub_f16_e64 v160, v147, v151
	v_sub_f16_e64 v170, v149, v148
	v_pack_b32_f16 v18, v18, v163
	v_add_f16_e64 v163, v164, v165
	v_fma_f16 v164, -0.5, v169, v161
	v_fmac_f16_e64 v167, 0x34f2, v166
	v_fmac_f16_e64 v154, 0x34f2, v166
	v_fma_f16 v166, 0x3b9c, v160, v159
	v_fmac_f16_e64 v159, 0xbb9c, v160
	v_sub_f16_e64 v165, v153, v152
	v_sub_f16_e64 v169, v155, v156
	v_add_f16_e64 v171, v161, v152
	v_fma_f16 v172, 0xbb9c, v170, v164
	v_fmac_f16_e64 v164, 0x3b9c, v170
	v_fmac_f16_e64 v166, 0x38b4, v170
	;; [unrolled: 1-line block ×3, first 2 shown]
	v_add_f16_e64 v165, v165, v169
	v_add_f16_e64 v169, v171, v153
	v_fmac_f16_e64 v172, 0x38b4, v160
	v_fmac_f16_e64 v164, 0xb8b4, v160
	v_lshrrev_b32_e32 v160, 16, v161
	v_fmac_f16_e64 v168, 0x34f2, v157
	v_fmac_f16_e64 v166, 0x34f2, v163
	v_add_f16_e64 v157, v169, v155
	v_fmac_f16_e64 v159, 0x34f2, v163
	v_add_f16_e64 v161, v160, v147
	v_add_f16_e64 v163, v149, v148
	v_fmac_f16_e64 v172, 0x34f2, v165
	v_fmac_f16_e64 v164, 0x34f2, v165
	v_add_f16_e64 v157, v157, v156
	v_sub_f16_e64 v152, v152, v156
	v_sub_f16_e64 v156, v147, v149
	;; [unrolled: 1-line block ×3, first 2 shown]
	v_add_f16_e64 v161, v161, v149
	v_fma_f16 v163, -0.5, v163, v160
	v_sub_f16_e64 v153, v153, v155
	v_add_f16_e64 v155, v147, v151
	v_add_f16_e64 v156, v156, v165
	;; [unrolled: 1-line block ×3, first 2 shown]
	v_fma_f16 v165, 0xbb9c, v152, v163
	v_fmac_f16_e64 v163, 0x3b9c, v152
	v_fmac_f16_e64 v160, -0.5, v155
	v_sub_f16_e64 v147, v149, v147
	v_sub_f16_e64 v148, v148, v151
	v_add_f16_e64 v149, v161, v151
	v_fmac_f16_e64 v165, 0xb8b4, v153
	v_fmac_f16_e64 v163, 0x38b4, v153
	v_fma_f16 v151, 0x3b9c, v153, v160
	v_fmac_f16_e64 v160, 0xbb9c, v153
	v_add_f16_e64 v147, v147, v148
	v_add_f16_e64 v148, v56, v138
	v_sub_f16_e64 v153, v143, v56
	v_sub_f16_e64 v155, v144, v138
	v_fmac_f16_e64 v151, 0xb8b4, v152
	v_fmac_f16_e64 v160, 0x38b4, v152
	v_fma_f16 v148, -0.5, v148, v162
	v_sub_f16_e64 v152, v48, v55
	v_add_f16_e64 v153, v153, v155
	v_add_f16_e64 v155, v143, v144
	;; [unrolled: 1-line block ×3, first 2 shown]
	v_fmac_f16_e64 v165, 0x34f2, v156
	v_fmac_f16_e64 v163, 0x34f2, v156
	v_lshrrev_b32_e32 v156, 16, v162
	v_fma_f16 v169, 0x3b9c, v152, v148
	v_sub_f16_e64 v170, v50, v53
	v_fmac_f16_e64 v162, -0.5, v155
	v_fmac_f16_e64 v148, 0xbb9c, v152
	v_add_f16_e64 v161, v161, v56
	v_add_f16_e64 v52, v52, v173
	v_sub_f16_e64 v155, v56, v143
	v_sub_f16_e64 v171, v138, v144
	v_fmac_f16_e64 v169, 0x38b4, v170
	v_fma_f16 v173, 0xbb9c, v170, v162
	v_fmac_f16_e64 v162, 0x3b9c, v170
	v_fmac_f16_e64 v148, 0xb8b4, v170
	v_fmac_f16_e64 v151, 0x34f2, v147
	v_fmac_f16_e64 v160, 0x34f2, v147
	v_add_f16_e64 v147, v161, v138
	v_add_f16_e64 v155, v155, v171
	v_fmac_f16_e64 v173, 0x38b4, v152
	v_fmac_f16_e64 v162, 0xb8b4, v152
	;; [unrolled: 1-line block ×4, first 2 shown]
	v_add_f16_e64 v147, v147, v144
	v_add_f16_e64 v152, v156, v48
	v_sub_f16_e64 v153, v143, v144
	v_add_f16_e64 v161, v50, v53
	ds_load_2addr_b32 v[143:144], v83 offset0:20 offset1:25
	v_fmac_f16_e64 v173, 0x34f2, v155
	v_fmac_f16_e64 v162, 0x34f2, v155
	v_sub_f16_e64 v155, v48, v50
	v_sub_f16_e64 v170, v55, v53
	v_add_f16_e64 v152, v152, v50
	v_fma_f16 v161, -0.5, v161, v156
	v_sub_f16_e64 v56, v56, v138
	v_add_f16_e64 v171, v48, v55
	v_add_f16_e64 v138, v155, v170
	v_add_f16_e64 v152, v152, v53
	v_fma_f16 v155, 0xbb9c, v153, v161
	v_fmac_f16_e64 v161, 0x3b9c, v153
	v_sub_f16_e32 v48, v50, v48
	v_sub_f16_e32 v53, v53, v55
	v_add_f16_e64 v50, v152, v55
	v_fmac_f16_e64 v155, 0xb8b4, v56
	v_fmac_f16_e64 v161, 0x38b4, v56
	v_add_f16_e64 v152, v43, v45
	v_fmac_f16_e64 v156, -0.5, v171
	v_add_f16_e32 v48, v48, v53
	v_fmac_f16_e64 v155, 0x34f2, v138
	v_fmac_f16_e64 v161, 0x34f2, v138
	s_wait_dscnt 0x0
	v_fma_f16 v53, -0.5, v152, v143
	v_sub_f16_e64 v138, v42, v43
	v_sub_f16_e64 v152, v51, v45
	v_add_f16_e64 v170, v42, v51
	v_fma_f16 v55, 0x3b9c, v56, v156
	v_fmac_f16_e64 v156, 0xbb9c, v56
	v_sub_f16_e32 v56, v38, v44
	v_sub_f16_e64 v174, v39, v41
	v_add_f16_e64 v138, v138, v152
	v_fma_f16 v152, -0.5, v170, v143
	v_add_f16_e64 v46, v46, v175
	v_fmac_f16_e64 v55, 0xb8b4, v153
	v_fma_f16 v171, 0x3b9c, v56, v53
	v_fmac_f16_e64 v156, 0x38b4, v153
	v_fmac_f16_e32 v53, 0xbb9c, v56
	v_sub_f16_e64 v153, v43, v42
	v_sub_f16_e64 v170, v45, v51
	v_fma_f16 v175, 0xbb9c, v174, v152
	v_add_f16_e64 v176, v143, v42
	v_fmac_f16_e64 v152, 0x3b9c, v174
	v_fmac_f16_e64 v171, 0x38b4, v174
	;; [unrolled: 1-line block ×3, first 2 shown]
	v_add_f16_e64 v153, v153, v170
	v_fmac_f16_e64 v175, 0x38b4, v56
	v_add_f16_e64 v170, v176, v43
	v_fmac_f16_e64 v152, 0xb8b4, v56
	v_lshrrev_b32_e32 v56, 16, v143
	v_fmac_f16_e32 v55, 0x34f2, v48
	v_fmac_f16_e64 v156, 0x34f2, v48
	v_fmac_f16_e64 v171, 0x34f2, v138
	v_add_f16_e64 v48, v170, v45
	v_fmac_f16_e64 v53, 0x34f2, v138
	v_add_f16_e64 v138, v56, v38
	v_add_f16_e64 v143, v39, v41
	v_fmac_f16_e64 v175, 0x34f2, v153
	v_fmac_f16_e64 v152, 0x34f2, v153
	v_add_f16_e32 v48, v48, v51
	v_sub_f16_e32 v42, v42, v51
	v_sub_f16_e32 v51, v38, v39
	v_sub_f16_e64 v153, v44, v41
	v_add_f16_e64 v138, v138, v39
	v_fma_f16 v143, -0.5, v143, v56
	v_sub_f16_e32 v43, v43, v45
	v_add_f16_e32 v45, v38, v44
	v_add_f16_e64 v51, v51, v153
	v_add_f16_e64 v138, v138, v41
	v_fma_f16 v153, 0xbb9c, v42, v143
	v_fmac_f16_e64 v143, 0x3b9c, v42
	v_fmac_f16_e32 v56, -0.5, v45
	v_sub_f16_e32 v38, v39, v38
	v_sub_f16_e32 v41, v41, v44
	v_add_f16_e64 v39, v138, v44
	v_fmac_f16_e64 v153, 0xb8b4, v43
	v_fmac_f16_e64 v143, 0x38b4, v43
	v_fmamk_f16 v44, v43, 0x3b9c, v56
	v_fmac_f16_e32 v56, 0xbb9c, v43
	v_sub_f16_e32 v43, v22, v26
	v_sub_f16_e32 v45, v36, v29
	v_add_f16_e32 v38, v38, v41
	v_add_f16_e32 v41, v26, v29
	v_fmac_f16_e32 v44, 0xb8b4, v42
	v_fmac_f16_e32 v56, 0x38b4, v42
	v_add_f16_e32 v42, v43, v45
	v_add_f16_e32 v43, v22, v36
	v_fma_f16 v41, -0.5, v41, v144
	v_sub_f16_e32 v45, v21, v35
	v_fmac_f16_e64 v153, 0x34f2, v51
	v_fmac_f16_e64 v143, 0x34f2, v51
	v_lshrrev_b32_e32 v51, 16, v144
	v_add_f16_e64 v138, v144, v22
	v_fmac_f16_e64 v144, -0.5, v43
	v_sub_f16_e32 v43, v24, v28
	v_fma_f16 v170, 0x3b9c, v45, v41
	v_fmac_f16_e32 v41, 0xbb9c, v45
	v_sub_f16_e64 v174, v26, v22
	v_sub_f16_e64 v176, v29, v36
	v_fma_f16 v177, 0xbb9c, v43, v144
	v_fmac_f16_e64 v170, 0x38b4, v43
	v_fmac_f16_e64 v144, 0x3b9c, v43
	v_fmac_f16_e32 v41, 0xb8b4, v43
	v_add_f16_e64 v138, v138, v26
	v_add_f16_e64 v43, v174, v176
	v_fmac_f16_e64 v177, 0x38b4, v45
	v_fmac_f16_e64 v144, 0xb8b4, v45
	v_fmac_f16_e32 v44, 0x34f2, v38
	v_fmac_f16_e32 v56, 0x34f2, v38
	v_fmac_f16_e64 v170, 0x34f2, v42
	v_add_f16_e64 v38, v138, v29
	v_fmac_f16_e32 v41, 0x34f2, v42
	v_add_f16_e32 v42, v24, v28
	v_add_f16_e32 v45, v21, v35
	v_fmac_f16_e64 v177, 0x34f2, v43
	v_fmac_f16_e64 v144, 0x34f2, v43
	v_add_f16_e32 v38, v38, v36
	v_sub_f16_e32 v22, v22, v36
	v_sub_f16_e32 v36, v21, v24
	;; [unrolled: 1-line block ×3, first 2 shown]
	v_fma_f16 v42, -0.5, v42, v51
	v_add_f16_e64 v138, v51, v21
	v_sub_f16_e32 v26, v26, v29
	v_fmac_f16_e32 v51, -0.5, v45
	v_add_f16_e32 v29, v36, v43
	v_sub_f16_e32 v21, v24, v21
	v_add_f16_e64 v43, v138, v24
	v_sub_f16_e32 v24, v28, v35
	v_fmamk_f16 v45, v26, 0x3b9c, v51
	v_fmac_f16_e32 v51, 0xbb9c, v26
	v_fmamk_f16 v36, v22, 0xbb9c, v42
	v_fmac_f16_e32 v42, 0x3b9c, v22
	v_add_f16_e64 v150, v150, v179
	v_add_f16_e32 v28, v43, v28
	v_add_f16_e32 v21, v21, v24
	v_fmac_f16_e32 v45, 0xb8b4, v22
	v_fmac_f16_e32 v51, 0x38b4, v22
	;; [unrolled: 1-line block ×4, first 2 shown]
	v_add_f16_e32 v22, v28, v35
	v_fmac_f16_e32 v45, 0x34f2, v21
	v_fmac_f16_e32 v51, 0x34f2, v21
	v_pack_b32_f16 v21, v46, v52
	v_pack_b32_f16 v28, v150, v158
	v_fmac_f16_e32 v36, 0x34f2, v29
	v_fmac_f16_e32 v42, 0x34f2, v29
	v_pack_b32_f16 v24, v30, v49
	v_pack_b32_f16 v29, v145, v167
	;; [unrolled: 1-line block ×7, first 2 shown]
	global_wb scope:SCOPE_SE
	s_barrier_signal -1
	s_barrier_wait -1
	global_inv scope:SCOPE_SE
	ds_store_2addr_b32 v83, v21, v28 offset1:5
	ds_store_2addr_b32 v83, v24, v29 offset0:10 offset1:15
	ds_store_2addr_b32 v83, v26, v30 offset0:20 offset1:25
	;; [unrolled: 1-line block ×4, first 2 shown]
	v_pack_b32_f16 v17, v157, v149
	v_pack_b32_f16 v21, v147, v50
	;; [unrolled: 1-line block ×6, first 2 shown]
	ds_store_2addr_b32 v83, v17, v21 offset0:50 offset1:55
	v_and_b32_e32 v17, 0xff, v20
	ds_store_2addr_b32 v83, v18, v26 offset0:60 offset1:65
	v_pack_b32_f16 v18, v173, v55
	v_pack_b32_f16 v20, v162, v156
	;; [unrolled: 1-line block ×4, first 2 shown]
	v_lshl_add_u32 v138, v17, 2, v32
	v_pack_b32_f16 v17, v48, v39
	v_pack_b32_f16 v26, v171, v153
	ds_store_2addr_b32 v83, v24, v18 offset0:70 offset1:75
	ds_store_2addr_b32 v83, v27, v20 offset0:80 offset1:85
	;; [unrolled: 1-line block ×3, first 2 shown]
	v_and_b32_e32 v18, 0xff, v19
	v_lshlrev_b32_e32 v34, 3, v111
	v_pack_b32_f16 v19, v152, v56
	ds_store_2addr_b32 v138, v17, v26 offset0:100 offset1:110
	v_pack_b32_f16 v17, v175, v44
	v_pack_b32_f16 v20, v53, v143
	v_lshl_add_u32 v142, v18, 2, v32
	v_pack_b32_f16 v18, v38, v22
	v_pack_b32_f16 v21, v170, v36
	;; [unrolled: 1-line block ×5, first 2 shown]
	ds_store_2addr_b32 v138, v17, v19 offset0:120 offset1:130
	ds_store_b32 v138, v20 offset:560
	ds_store_2addr_b32 v142, v18, v21 offset0:100 offset1:110
	ds_store_2addr_b32 v142, v22, v24 offset0:120 offset1:130
	ds_store_b32 v142, v26 offset:560
	global_wb scope:SCOPE_SE
	s_wait_dscnt 0x0
	s_barrier_signal -1
	s_barrier_wait -1
	global_inv scope:SCOPE_SE
	global_load_b64 v[27:28], v34, s[10:11] offset:160
	v_lshlrev_b32_e32 v17, 3, v31
	v_lshlrev_b32_e32 v19, 3, v33
	v_add_nc_u32_e32 v21, 0x78, v34
	s_clause 0x4
	global_load_b64 v[23:24], v23, s[10:11] offset:160
	global_load_b64 v[25:26], v25, s[10:11] offset:160
	;; [unrolled: 1-line block ×5, first 2 shown]
	v_add_nc_u32_e32 v29, 0xf0, v34
	v_lshlrev_b32_e32 v33, 3, v65
	global_load_b64 v[31:32], v29, s[10:11] offset:160
	v_add_nc_u32_e32 v29, 0x118, v34
	v_add_nc_u32_e32 v34, 0x168, v34
	s_clause 0x2
	global_load_b64 v[29:30], v29, s[10:11] offset:160
	global_load_b64 v[35:36], v33, s[10:11] offset:160
	;; [unrolled: 1-line block ×3, first 2 shown]
	ds_load_2addr_b32 v[38:39], v83 offset1:5
	ds_load_2addr_b32 v[40:41], v83 offset0:50 offset1:55
	ds_load_2addr_b32 v[42:43], v83 offset0:100 offset1:105
	;; [unrolled: 1-line block ×11, first 2 shown]
	s_wait_dscnt 0xb
	v_lshrrev_b32_e32 v56, 16, v38
	s_wait_dscnt 0xa
	v_lshrrev_b32_e32 v143, 16, v40
	;; [unrolled: 2-line block ×3, first 2 shown]
	v_lshrrev_b32_e32 v149, 16, v41
	v_lshrrev_b32_e32 v150, 16, v43
	s_wait_dscnt 0x7
	v_lshrrev_b32_e32 v153, 16, v46
	s_wait_dscnt 0x6
	v_lshrrev_b32_e32 v154, 16, v48
	v_lshrrev_b32_e32 v151, 16, v39
	;; [unrolled: 1-line block ×3, first 2 shown]
	s_wait_loadcnt 0x9
	v_lshrrev_b32_e32 v147, 16, v27
	v_lshrrev_b32_e32 v148, 16, v28
	s_delay_alu instid0(VALU_DEP_2)
	v_mul_f16_e64 v146, v143, v147
	v_mul_f16_e64 v155, v40, v147
	s_wait_loadcnt 0x6
	v_lshrrev_b32_e32 v145, 16, v17
	v_mul_f16_e64 v156, v144, v148
	v_mul_f16_e64 v161, v42, v148
	v_fma_f16 v40, v40, v27, -v146
	v_fmac_f16_e64 v155, v143, v27
	v_mul_f16_e64 v143, v149, v145
	v_lshrrev_b32_e32 v146, 16, v18
	v_fma_f16 v42, v42, v28, -v156
	v_fmac_f16_e64 v161, v144, v28
	v_mul_f16_e64 v156, v41, v145
	v_fma_f16 v162, v41, v17, -v143
	s_wait_loadcnt 0x5
	v_lshrrev_b32_e32 v144, 16, v19
	v_mul_f16_e64 v41, v150, v146
	v_lshrrev_b32_e32 v143, 16, v20
	v_mul_f16_e64 v165, v43, v146
	v_fmac_f16_e64 v156, v149, v17
	v_mul_f16_e64 v149, v46, v144
	v_fma_f16 v43, v43, v18, -v41
	v_mul_f16_e64 v167, v48, v143
	v_add_f16_e32 v41, v40, v42
	v_fmac_f16_e64 v165, v150, v18
	v_mul_f16_e64 v150, v153, v144
	v_fmac_f16_e64 v149, v153, v19
	v_mul_f16_e64 v153, v154, v143
	v_add_f16_e64 v166, v38, v40
	v_fmac_f16_e64 v167, v154, v20
	v_add_f16_e64 v154, v155, v161
	v_fma_f16 v38, -0.5, v41, v38
	v_sub_f16_e64 v41, v155, v161
	v_add_f16_e64 v155, v56, v155
	v_sub_f16_e32 v40, v40, v42
	v_fmac_f16_e64 v56, -0.5, v154
	v_add_f16_e64 v166, v166, v42
	v_fma_f16 v154, 0x3aee, v41, v38
	v_fmac_f16_e32 v38, 0xbaee, v41
	v_add_f16_e64 v41, v162, v43
	v_add_f16_e64 v42, v155, v161
	v_fma_f16 v155, 0xbaee, v40, v56
	v_add_f16_e64 v161, v156, v165
	v_add_f16_e64 v168, v39, v162
	v_fmac_f16_e32 v39, -0.5, v41
	v_add_f16_e64 v169, v151, v156
	v_sub_f16_e64 v156, v156, v165
	v_fma_f16 v46, v46, v19, -v150
	v_fma_f16 v48, v48, v20, -v153
	v_fmac_f16_e32 v56, 0x3aee, v40
	v_fmac_f16_e64 v151, -0.5, v161
	v_add_f16_e64 v150, v168, v43
	v_sub_f16_e64 v43, v162, v43
	v_fma_f16 v153, 0x3aee, v156, v39
	v_fmac_f16_e64 v39, 0xbaee, v156
	v_add_f16_e64 v156, v149, v167
	v_add_f16_e64 v161, v169, v165
	v_pack_b32_f16 v154, v154, v155
	v_add_f16_e64 v155, v46, v48
	v_pack_b32_f16 v38, v38, v56
	ds_load_2addr_b32 v[40:41], v83 offset0:40 offset1:45
	v_fma_f16 v162, 0xbaee, v43, v151
	v_fmac_f16_e64 v151, 0x3aee, v43
	v_add_f16_e64 v168, v152, v149
	v_fmac_f16_e64 v152, -0.5, v156
	v_pack_b32_f16 v156, v166, v42
	ds_load_2addr_b32 v[42:43], v83 offset0:90 offset1:95
	v_pack_b32_f16 v56, v150, v161
	ds_load_2addr_b32 v[165:166], v83 offset0:140 offset1:145
	v_lshrrev_b32_e32 v161, 16, v47
	v_fma_f16 v155, -0.5, v155, v44
	v_sub_f16_e64 v169, v149, v167
	v_sub_f16_e64 v170, v46, v48
	ds_store_b32 v83, v154 offset:200
	ds_store_b32 v83, v38 offset:400
	s_wait_loadcnt 0x4
	v_lshrrev_b32_e32 v149, 16, v21
	v_lshrrev_b32_e32 v154, 16, v49
	;; [unrolled: 1-line block ×3, first 2 shown]
	ds_store_2addr_b32 v83, v156, v56 offset1:5
	v_fma_f16 v38, 0x3aee, v169, v155
	v_fma_f16 v56, 0xbaee, v170, v152
	v_mul_f16_e64 v156, v161, v149
	v_pack_b32_f16 v39, v39, v151
	v_mul_f16_e64 v151, v154, v150
	v_fmac_f16_e64 v155, 0xbaee, v169
	v_pack_b32_f16 v38, v38, v56
	v_fma_f16 v56, v47, v21, -v156
	v_mul_f16_e64 v47, v47, v149
	v_fma_f16 v156, v49, v22, -v151
	v_mul_f16_e64 v49, v49, v150
	v_fmac_f16_e64 v152, 0x3aee, v170
	v_pack_b32_f16 v153, v153, v162
	v_fmac_f16_e64 v47, v161, v21
	v_add_f16_e32 v44, v44, v46
	v_fmac_f16_e64 v49, v154, v22
	v_pack_b32_f16 v152, v155, v152
	ds_store_2addr_b32 v83, v153, v38 offset0:55 offset1:60
	v_lshrrev_b32_e32 v38, 16, v45
	v_add_f16_e32 v44, v44, v48
	v_add_f16_e64 v48, v56, v156
	ds_store_2addr_b32 v83, v39, v152 offset0:105 offset1:110
	v_add_f16_e32 v39, v47, v49
	v_lshrrev_b32_e32 v152, 16, v24
	s_wait_dscnt 0xc
	v_lshrrev_b32_e32 v153, 16, v52
	s_wait_dscnt 0xb
	v_lshrrev_b32_e32 v46, 16, v54
	v_lshrrev_b32_e32 v151, 16, v23
	v_add_f16_e64 v154, v168, v167
	v_add_f16_e64 v155, v45, v56
	v_fmac_f16_e32 v45, -0.5, v48
	v_add_f16_e32 v48, v38, v47
	v_fmac_f16_e32 v38, -0.5, v39
	v_mul_f16_e64 v39, v54, v152
	v_sub_f16_e32 v47, v47, v49
	v_pack_b32_f16 v44, v44, v154
	v_add_f16_e32 v48, v48, v49
	v_mul_f16_e64 v49, v52, v151
	v_add_f16_e64 v154, v155, v156
	v_mul_f16_e64 v155, v153, v151
	v_fmac_f16_e32 v39, v46, v24
	v_mul_f16_e64 v46, v46, v152
	v_fmac_f16_e64 v49, v153, v23
	v_pack_b32_f16 v48, v154, v48
	v_fma_f16 v52, v52, v23, -v155
	v_sub_f16_e64 v56, v56, v156
	v_fma_f16 v46, v54, v24, -v46
	v_add_f16_e64 v155, v49, v39
	ds_store_2addr_b32 v83, v44, v48 offset0:10 offset1:15
	v_fmamk_f16 v48, v47, 0x3aee, v45
	v_fmac_f16_e32 v45, 0xbaee, v47
	v_add_f16_e64 v154, v52, v46
	v_lshrrev_b32_e32 v47, 16, v50
	v_sub_f16_e64 v167, v49, v39
	v_lshrrev_b32_e32 v161, 16, v53
	v_lshrrev_b32_e32 v153, 16, v25
	v_fma_f16 v162, -0.5, v154, v50
	v_add_f16_e32 v49, v47, v49
	v_fmac_f16_e64 v47, -0.5, v155
	v_sub_f16_e64 v155, v52, v46
	v_lshrrev_b32_e32 v54, 16, v55
	v_fma_f16 v156, 0xbaee, v56, v38
	v_fmac_f16_e32 v38, 0x3aee, v56
	v_lshrrev_b32_e32 v154, 16, v26
	v_fma_f16 v56, 0x3aee, v167, v162
	v_fma_f16 v168, 0xbaee, v155, v47
	v_mul_f16_e64 v44, v161, v153
	v_pack_b32_f16 v38, v45, v38
	v_mul_f16_e64 v169, v54, v154
	v_pack_b32_f16 v45, v48, v156
	v_pack_b32_f16 v48, v56, v168
	v_fma_f16 v44, v53, v25, -v44
	v_mul_f16_e64 v53, v53, v153
	v_fma_f16 v56, v55, v26, -v169
	v_mul_f16_e64 v55, v55, v154
	v_fmac_f16_e64 v162, 0xbaee, v167
	ds_store_2addr_b32 v83, v45, v48 offset0:65 offset1:70
	v_add_f16_e32 v45, v50, v52
	v_fmac_f16_e64 v47, 0x3aee, v155
	v_fmac_f16_e64 v53, v161, v25
	v_lshrrev_b32_e32 v48, 16, v51
	v_fmac_f16_e32 v55, v54, v26
	v_add_f16_e32 v45, v45, v46
	v_add_f16_e32 v46, v44, v56
	v_pack_b32_f16 v47, v162, v47
	s_wait_dscnt 0xb
	v_lshrrev_b32_e32 v50, 16, v157
	s_wait_loadcnt 0x3
	v_lshrrev_b32_e32 v155, 16, v31
	v_add_f16_e32 v39, v49, v39
	v_add_f16_e32 v49, v51, v44
	v_fmac_f16_e32 v51, -0.5, v46
	v_add_f16_e32 v46, v48, v53
	ds_store_2addr_b32 v83, v38, v47 offset0:115 offset1:120
	v_lshrrev_b32_e32 v156, 16, v32
	s_wait_dscnt 0xb
	v_lshrrev_b32_e32 v38, 16, v159
	v_add_f16_e32 v47, v53, v55
	v_sub_f16_e32 v52, v53, v55
	v_add_f16_e32 v46, v46, v55
	v_mul_f16_e64 v53, v50, v155
	v_mul_f16_e64 v54, v38, v156
	v_fmac_f16_e32 v48, -0.5, v47
	v_mul_f16_e64 v47, v157, v155
	v_mul_f16_e64 v55, v159, v156
	v_fma_f16 v53, v157, v31, -v53
	v_fma_f16 v54, v159, v32, -v54
	v_add_f16_e32 v49, v49, v56
	v_fmac_f16_e32 v47, v50, v31
	v_fmac_f16_e32 v55, v38, v32
	v_pack_b32_f16 v38, v45, v39
	v_add_f16_e32 v39, v53, v54
	v_pack_b32_f16 v45, v49, v46
	v_lshrrev_b32_e32 v46, 16, v163
	v_add_f16_e32 v49, v47, v55
	v_sub_f16_e32 v44, v44, v56
	v_fma_f16 v39, -0.5, v39, v163
	v_sub_f16_e32 v50, v47, v55
	v_add_f16_e32 v47, v46, v47
	v_fmac_f16_e32 v46, -0.5, v49
	v_sub_f16_e32 v49, v53, v54
	v_fmamk_f16 v56, v52, 0x3aee, v51
	v_fmac_f16_e32 v51, 0xbaee, v52
	v_fmamk_f16 v52, v44, 0xbaee, v48
	v_fma_f16 v159, 0x3aee, v50, v39
	v_fma_f16 v161, 0xbaee, v49, v46
	v_lshrrev_b32_e32 v162, 16, v158
	s_wait_loadcnt 0x2
	v_lshrrev_b32_e32 v157, 16, v29
	v_fmac_f16_e32 v48, 0x3aee, v44
	ds_store_2addr_b32 v83, v38, v45 offset0:20 offset1:25
	v_pack_b32_f16 v38, v56, v52
	v_pack_b32_f16 v44, v159, v161
	v_mul_f16_e64 v45, v162, v157
	v_pack_b32_f16 v48, v51, v48
	v_lshrrev_b32_e32 v51, 16, v160
	v_lshrrev_b32_e32 v159, 16, v30
	ds_store_2addr_b32 v83, v38, v44 offset0:75 offset1:80
	v_fma_f16 v38, v158, v29, -v45
	v_mul_f16_e64 v44, v158, v157
	v_fmac_f16_e32 v39, 0xbaee, v50
	v_fmac_f16_e32 v46, 0x3aee, v49
	s_wait_dscnt 0xb
	v_lshrrev_b32_e32 v49, 16, v42
	v_lshrrev_b32_e32 v50, 16, v43
	s_wait_loadcnt 0x1
	v_lshrrev_b32_e32 v161, 16, v35
	s_wait_loadcnt 0x0
	v_lshrrev_b32_e32 v158, 16, v33
	v_mul_f16_e64 v45, v51, v159
	v_fmac_f16_e64 v44, v162, v29
	v_mul_f16_e64 v52, v160, v159
	v_pack_b32_f16 v39, v39, v46
	v_mul_f16_e64 v46, v49, v161
	s_wait_dscnt 0xa
	v_lshrrev_b32_e32 v56, 16, v165
	v_lshrrev_b32_e32 v162, 16, v36
	v_mul_f16_e64 v168, v50, v158
	v_fma_f16 v45, v160, v30, -v45
	ds_store_2addr_b32 v83, v48, v39 offset0:125 offset1:130
	v_fma_f16 v39, v42, v35, -v46
	v_mul_f16_e64 v46, v56, v162
	v_fma_f16 v168, v43, v33, -v168
	v_mul_f16_e64 v42, v42, v161
	v_mul_f16_e64 v43, v43, v158
	v_fmac_f16_e32 v52, v51, v30
	v_add_f16_e64 v51, v163, v53
	v_fma_f16 v46, v165, v36, -v46
	v_mul_f16_e64 v165, v165, v162
	v_fmac_f16_e32 v42, v49, v35
	v_fmac_f16_e32 v43, v50, v33
	v_add_f16_e32 v49, v51, v54
	v_add_f16_e32 v50, v38, v45
	v_lshrrev_b32_e32 v51, 16, v164
	v_lshrrev_b32_e32 v167, 16, v166
	;; [unrolled: 1-line block ×3, first 2 shown]
	v_fmac_f16_e64 v165, v56, v36
	v_add_f16_e32 v53, v44, v52
	v_add_f16_e64 v54, v164, v38
	v_fmac_f16_e64 v164, -0.5, v50
	v_sub_f16_e32 v50, v44, v52
	v_add_f16_e32 v44, v51, v44
	v_mul_f16_e64 v48, v167, v160
	v_add_f16_e32 v47, v47, v55
	v_fmac_f16_e32 v51, -0.5, v53
	v_sub_f16_e32 v38, v38, v45
	v_add_f16_e32 v45, v54, v45
	v_add_f16_e32 v44, v44, v52
	v_lshrrev_b32_e32 v52, 16, v40
	v_add_f16_e64 v54, v42, v165
	v_fma_f16 v48, v166, v34, -v48
	v_mul_f16_e64 v166, v166, v160
	v_fma_f16 v53, 0x3aee, v50, v164
	v_fmac_f16_e64 v164, 0xbaee, v50
	v_fmamk_f16 v50, v38, 0xbaee, v51
	v_add_f16_e32 v55, v39, v46
	v_fmac_f16_e32 v51, 0x3aee, v38
	v_add_f16_e32 v38, v40, v39
	v_add_f16_e32 v56, v52, v42
	v_fmac_f16_e32 v52, -0.5, v54
	v_pack_b32_f16 v47, v49, v47
	v_pack_b32_f16 v44, v45, v44
	v_sub_f16_e32 v39, v39, v46
	v_fmac_f16_e64 v166, v167, v34
	v_add_f16_e32 v38, v38, v46
	v_fma_f16 v40, -0.5, v55, v40
	ds_store_2addr_b32 v83, v47, v44 offset0:30 offset1:35
	v_add_f16_e64 v44, v168, v48
	v_fmamk_f16 v46, v39, 0xbaee, v52
	v_fmac_f16_e32 v52, 0x3aee, v39
	v_lshrrev_b32_e32 v39, 16, v41
	v_add_f16_e64 v47, v43, v166
	v_sub_f16_e64 v42, v42, v165
	v_add_f16_e64 v49, v41, v168
	v_fmac_f16_e32 v41, -0.5, v44
	v_sub_f16_e64 v44, v43, v166
	v_add_f16_e32 v43, v39, v43
	v_fmac_f16_e32 v39, -0.5, v47
	v_sub_f16_e64 v47, v168, v48
	v_fmamk_f16 v45, v42, 0x3aee, v40
	v_fmac_f16_e32 v40, 0xbaee, v42
	v_add_f16_e64 v42, v56, v165
	v_add_f16_e32 v48, v49, v48
	v_add_f16_e64 v43, v43, v166
	v_fmamk_f16 v49, v44, 0x3aee, v41
	v_fmac_f16_e32 v41, 0xbaee, v44
	v_fmamk_f16 v44, v47, 0xbaee, v39
	v_fmac_f16_e32 v39, 0x3aee, v47
	v_pack_b32_f16 v47, v53, v50
	v_pack_b32_f16 v38, v38, v42
	v_pack_b32_f16 v42, v45, v46
	v_pack_b32_f16 v50, v164, v51
	v_pack_b32_f16 v40, v40, v52
	v_pack_b32_f16 v43, v48, v43
	v_pack_b32_f16 v44, v49, v44
	v_pack_b32_f16 v39, v41, v39
	ds_store_2addr_b32 v83, v47, v42 offset0:85 offset1:90
	ds_store_2addr_b32 v83, v50, v40 offset0:135 offset1:140
	;; [unrolled: 1-line block ×3, first 2 shown]
	ds_store_b32 v83, v44 offset:380
	ds_store_b32 v83, v39 offset:580
	global_wb scope:SCOPE_SE
	s_wait_dscnt 0x0
	s_barrier_signal -1
	s_barrier_wait -1
	global_inv scope:SCOPE_SE
	s_clause 0x1d
	global_load_b32 v38, v37, s[8:9] offset:600
	global_load_b32 v45, v37, s[2:3] offset:20
	;; [unrolled: 1-line block ×30, first 2 shown]
	ds_load_2addr_b32 v[39:40], v83 offset1:5
	ds_load_2addr_b32 v[41:42], v83 offset0:30 offset1:35
	ds_load_2addr_b32 v[43:44], v83 offset0:60 offset1:65
	s_mov_b32 s8, 0xb4e81b4f
	s_mov_b32 s9, 0x3f7b4e81
	s_wait_dscnt 0x2
	v_lshrrev_b32_e32 v180, 16, v39
	v_lshrrev_b32_e32 v181, 16, v40
	s_wait_loadcnt 0x1c
	v_lshrrev_b32_e32 v182, 16, v45
	s_wait_loadcnt 0x1b
	v_lshrrev_b32_e32 v185, 16, v46
	s_delay_alu instid0(VALU_DEP_2) | instskip(SKIP_2) | instid1(VALU_DEP_3)
	v_mul_f16_e64 v184, v181, v182
	v_mul_f16_e64 v182, v40, v182
	s_wait_dscnt 0x1
	v_mul_f16_e64 v186, v41, v185
	s_delay_alu instid0(VALU_DEP_3)
	v_fma_f16 v184, v40, v45, -v184
	v_lshrrev_b32_e32 v40, 16, v42
	v_fmac_f16_e64 v182, v181, v45
	s_wait_loadcnt 0x19
	v_lshrrev_b32_e32 v45, 16, v48
	s_wait_loadcnt 0x18
	v_lshrrev_b32_e32 v181, 16, v49
	s_wait_dscnt 0x0
	s_delay_alu instid0(VALU_DEP_2) | instskip(SKIP_1) | instid1(VALU_DEP_1)
	v_mul_f16_e64 v188, v43, v45
	v_lshrrev_b32_e32 v37, 16, v38
	v_mul_f16_e64 v183, v39, v37
	v_mul_f16_e64 v37, v180, v37
	s_delay_alu instid0(VALU_DEP_2) | instskip(SKIP_1) | instid1(VALU_DEP_3)
	v_fmac_f16_e64 v183, v180, v38
	v_lshrrev_b32_e32 v180, 16, v41
	v_fma_f16 v39, v39, v38, -v37
	s_delay_alu instid0(VALU_DEP_2) | instskip(SKIP_3) | instid1(VALU_DEP_4)
	v_mul_f16_e64 v37, v180, v185
	v_lshrrev_b32_e32 v185, 16, v47
	v_fmac_f16_e64 v186, v180, v46
	v_lshrrev_b32_e32 v180, 16, v44
	v_fma_f16 v41, v41, v46, -v37
	ds_load_2addr_b32 v[37:38], v83 offset0:90 offset1:95
	v_lshrrev_b32_e32 v46, 16, v43
	v_mul_f16_e64 v187, v40, v185
	v_mul_f16_e64 v185, v42, v185
	;; [unrolled: 1-line block ×3, first 2 shown]
	v_pack_b32_f16 v41, v41, v186
	v_mul_f16_e32 v45, v46, v45
	v_fmac_f16_e64 v188, v46, v48
	v_fmac_f16_e64 v185, v40, v47
	v_pack_b32_f16 v46, v39, v183
	ds_load_2addr_b32 v[39:40], v83 offset0:120 offset1:125
	v_fma_f16 v42, v42, v47, -v187
	v_fma_f16 v43, v43, v48, -v45
	v_fma_f16 v45, v44, v49, -v189
	v_mul_f16_e64 v44, v44, v181
	v_pack_b32_f16 v47, v184, v182
	v_pack_b32_f16 v42, v42, v185
	s_wait_loadcnt 0x17
	v_lshrrev_b32_e32 v48, 16, v50
	v_pack_b32_f16 v43, v43, v188
	v_fmac_f16_e64 v44, v180, v49
	s_wait_dscnt 0x1
	v_lshrrev_b32_e32 v49, 16, v37
	ds_store_2addr_b32 v83, v46, v47 offset1:5
	v_lshrrev_b32_e32 v46, 16, v38
	s_wait_loadcnt 0x16
	v_lshrrev_b32_e32 v47, 16, v51
	v_mul_f16_e64 v180, v37, v48
	v_mul_f16_e32 v48, v49, v48
	v_pack_b32_f16 v44, v45, v44
	ds_store_2addr_b32 v83, v41, v42 offset0:30 offset1:35
	ds_load_2addr_b32 v[41:42], v83 offset0:10 offset1:15
	v_mul_f16_e32 v45, v46, v47
	v_fmac_f16_e64 v180, v49, v50
	v_fma_f16 v37, v37, v50, -v48
	ds_store_2addr_b32 v83, v43, v44 offset0:60 offset1:65
	s_wait_loadcnt 0x15
	v_lshrrev_b32_e32 v43, 16, v52
	s_wait_dscnt 0x4
	v_lshrrev_b32_e32 v44, 16, v39
	v_lshrrev_b32_e32 v48, 16, v40
	s_wait_loadcnt 0x14
	v_lshrrev_b32_e32 v49, 16, v53
	v_fma_f16 v45, v38, v51, -v45
	v_mul_f16_e32 v47, v38, v47
	v_mul_f16_e32 v50, v39, v43
	;; [unrolled: 1-line block ×5, first 2 shown]
	v_fmac_f16_e32 v47, v46, v51
	v_fmac_f16_e32 v50, v44, v52
	v_fma_f16 v39, v39, v52, -v38
	v_fma_f16 v40, v40, v53, -v43
	v_fmac_f16_e32 v49, v48, v53
	v_pack_b32_f16 v43, v37, v180
	ds_load_2addr_b32 v[37:38], v83 offset0:20 offset1:25
	v_pack_b32_f16 v44, v45, v47
	v_pack_b32_f16 v39, v39, v50
	v_pack_b32_f16 v40, v40, v49
	s_wait_loadcnt 0x13
	v_lshrrev_b32_e32 v45, 16, v54
	s_wait_dscnt 0x2
	v_lshrrev_b32_e32 v46, 16, v42
	v_lshrrev_b32_e32 v47, 16, v41
	s_wait_loadcnt 0xf
	v_lshrrev_b32_e32 v48, 16, v164
	ds_store_2addr_b32 v83, v43, v44 offset0:90 offset1:95
	v_mul_f16_e32 v43, v42, v45
	ds_store_2addr_b32 v83, v39, v40 offset0:120 offset1:125
	v_mul_f16_e32 v44, v46, v45
	v_mul_f16_e32 v45, v47, v48
	;; [unrolled: 1-line block ×3, first 2 shown]
	ds_load_2addr_b32 v[39:40], v83 offset0:40 offset1:45
	v_fmac_f16_e32 v43, v46, v54
	v_fma_f16 v42, v42, v54, -v44
	v_fma_f16 v41, v41, v164, -v45
	v_fmac_f16_e64 v48, v47, v164
	v_lshrrev_b32_e32 v44, 16, v55
	s_wait_dscnt 0x3
	v_lshrrev_b32_e32 v45, 16, v37
	v_lshrrev_b32_e32 v46, 16, v38
	v_lshrrev_b32_e32 v47, 16, v163
	v_pack_b32_f16 v43, v42, v43
	v_pack_b32_f16 v48, v41, v48
	ds_load_2addr_b32 v[41:42], v83 offset0:50 offset1:55
	v_mul_f16_e32 v49, v37, v44
	v_mul_f16_e32 v44, v45, v44
	;; [unrolled: 1-line block ×4, first 2 shown]
	ds_store_2addr_b32 v83, v48, v43 offset0:10 offset1:15
	v_fmac_f16_e32 v49, v45, v55
	v_fma_f16 v37, v37, v55, -v44
	v_fma_f16 v38, v38, v163, -v50
	s_wait_loadcnt 0xe
	v_lshrrev_b32_e32 v44, 16, v165
	v_fmac_f16_e64 v47, v46, v163
	s_wait_dscnt 0x2
	v_lshrrev_b32_e32 v45, 16, v40
	v_pack_b32_f16 v37, v37, v49
	v_lshrrev_b32_e32 v46, 16, v39
	v_mul_f16_e32 v43, v40, v44
	v_pack_b32_f16 v38, v38, v47
	v_mul_f16_e32 v44, v45, v44
	v_lshrrev_b32_e32 v47, 16, v56
	s_wait_loadcnt 0xa
	v_lshrrev_b32_e32 v50, 16, v169
	v_fmac_f16_e64 v43, v45, v165
	ds_store_2addr_b32 v83, v37, v38 offset0:20 offset1:25
	v_fma_f16 v44, v40, v165, -v44
	ds_load_2addr_b32 v[37:38], v83 offset0:70 offset1:75
	v_mul_f16_e32 v40, v46, v47
	v_lshrrev_b32_e32 v45, 16, v166
	s_wait_dscnt 0x3
	v_lshrrev_b32_e32 v49, 16, v42
	v_lshrrev_b32_e32 v48, 16, v41
	v_mul_f16_e32 v47, v39, v47
	v_fma_f16 v52, v39, v56, -v40
	v_mul_f16_e32 v51, v41, v45
	v_mul_f16_e32 v39, v49, v50
	;; [unrolled: 1-line block ×3, first 2 shown]
	v_fmac_f16_e32 v47, v46, v56
	v_mul_f16_e32 v46, v42, v50
	v_fmac_f16_e64 v51, v48, v166
	v_fma_f16 v48, v42, v169, -v39
	ds_load_2addr_b32 v[39:40], v83 offset0:100 offset1:105
	v_fma_f16 v45, v41, v166, -v45
	ds_load_2addr_b32 v[41:42], v83 offset0:80 offset1:85
	s_wait_loadcnt 0x9
	v_lshrrev_b32_e32 v50, 16, v170
	v_pack_b32_f16 v43, v44, v43
	v_fmac_f16_e64 v46, v49, v169
	s_wait_dscnt 0x2
	v_lshrrev_b32_e32 v44, 16, v38
	v_lshrrev_b32_e32 v53, 16, v37
	;; [unrolled: 1-line block ×3, first 2 shown]
	v_mul_f16_e32 v49, v38, v50
	v_pack_b32_f16 v47, v52, v47
	v_pack_b32_f16 v46, v48, v46
	v_mul_f16_e32 v48, v44, v50
	v_mul_f16_e32 v50, v53, v54
	v_pack_b32_f16 v45, v45, v51
	v_fmac_f16_e64 v49, v44, v170
	ds_store_2addr_b32 v83, v47, v43 offset0:40 offset1:45
	ds_store_2addr_b32 v83, v45, v46 offset0:50 offset1:55
	v_fma_f16 v38, v38, v170, -v48
	v_fma_f16 v43, v37, v168, -v50
	v_mul_f16_e32 v44, v37, v54
	s_wait_loadcnt 0x8
	v_lshrrev_b32_e32 v37, 16, v171
	s_wait_dscnt 0x3
	v_lshrrev_b32_e32 v45, 16, v40
	v_pack_b32_f16 v46, v38, v49
	v_lshrrev_b32_e32 v47, 16, v167
	v_fmac_f16_e64 v44, v53, v168
	v_mul_f16_e32 v48, v40, v37
	v_mul_f16_e32 v49, v45, v37
	s_wait_dscnt 0x2
	v_lshrrev_b32_e32 v50, 16, v41
	ds_load_2addr_b32 v[37:38], v83 offset0:110 offset1:115
	v_mul_f16_e32 v51, v41, v47
	v_lshrrev_b32_e32 v52, 16, v42
	s_wait_loadcnt 0x4
	v_lshrrev_b32_e32 v53, 16, v175
	v_fmac_f16_e64 v48, v45, v171
	v_pack_b32_f16 v45, v43, v44
	v_mul_f16_e32 v47, v50, v47
	v_lshrrev_b32_e32 v54, 16, v39
	v_lshrrev_b32_e32 v55, 16, v174
	ds_load_2addr_b32 v[43:44], v83 offset0:130 offset1:135
	v_fmac_f16_e64 v51, v50, v167
	v_mul_f16_e32 v50, v52, v53
	ds_store_2addr_b32 v83, v45, v46 offset0:70 offset1:75
	v_fma_f16 v46, v41, v167, -v47
	v_mul_f16_e32 v41, v54, v55
	v_mul_f16_e32 v45, v42, v53
	v_fma_f16 v42, v42, v175, -v50
	v_lshrrev_b32_e32 v47, 16, v172
	v_fma_f16 v49, v40, v171, -v49
	v_fma_f16 v50, v39, v174, -v41
	ds_load_2addr_b32 v[40:41], v83 offset0:140 offset1:145
	v_fmac_f16_e64 v45, v52, v175
	s_wait_dscnt 0x3
	v_lshrrev_b32_e32 v52, 16, v37
	v_mul_f16_e32 v53, v37, v47
	v_lshrrev_b32_e32 v56, 16, v38
	v_lshrrev_b32_e32 v163, 16, v173
	v_mul_f16_e32 v39, v39, v55
	v_mul_f16_e32 v47, v52, v47
	v_fmac_f16_e64 v53, v52, v172
	s_wait_loadcnt 0x3
	v_lshrrev_b32_e32 v55, 16, v176
	v_mul_f16_e64 v52, v56, v163
	s_wait_dscnt 0x2
	v_lshrrev_b32_e32 v164, 16, v44
	v_fmac_f16_e64 v39, v54, v174
	v_fma_f16 v37, v37, v172, -v47
	s_wait_loadcnt 0x0
	v_lshrrev_b32_e32 v165, 16, v179
	v_fma_f16 v47, v38, v173, -v52
	v_mul_f16_e32 v52, v44, v55
	v_mul_f16_e64 v54, v164, v55
	v_lshrrev_b32_e32 v55, 16, v43
	v_mul_f16_e64 v38, v38, v163
	s_wait_dscnt 0x0
	v_lshrrev_b32_e32 v163, 16, v40
	v_fmac_f16_e64 v52, v164, v176
	v_fma_f16 v44, v44, v176, -v54
	v_lshrrev_b32_e32 v54, 16, v177
	v_pack_b32_f16 v48, v49, v48
	v_mul_f16_e64 v49, v55, v165
	v_fmac_f16_e64 v38, v56, v173
	v_pack_b32_f16 v44, v44, v52
	v_mul_f16_e32 v52, v40, v54
	v_mul_f16_e64 v54, v163, v54
	v_lshrrev_b32_e32 v56, 16, v41
	v_lshrrev_b32_e32 v164, 16, v178
	v_fma_f16 v49, v43, v179, -v49
	v_mul_f16_e64 v43, v43, v165
	v_pack_b32_f16 v46, v46, v51
	v_fma_f16 v40, v40, v177, -v54
	v_mul_f16_e64 v51, v56, v164
	v_mul_f16_e64 v54, v41, v164
	v_fmac_f16_e64 v43, v55, v179
	v_fmac_f16_e64 v52, v163, v177
	v_pack_b32_f16 v42, v42, v45
	v_fma_f16 v41, v41, v178, -v51
	v_fmac_f16_e64 v54, v56, v178
	v_pack_b32_f16 v39, v50, v39
	v_pack_b32_f16 v37, v37, v53
	;; [unrolled: 1-line block ×6, first 2 shown]
	ds_store_2addr_b32 v83, v46, v42 offset0:80 offset1:85
	ds_store_2addr_b32 v83, v39, v48 offset0:100 offset1:105
	;; [unrolled: 1-line block ×5, first 2 shown]
	global_wb scope:SCOPE_SE
	s_wait_dscnt 0x0
	s_barrier_signal -1
	s_barrier_wait -1
	global_inv scope:SCOPE_SE
	ds_load_2addr_b32 v[39:40], v83 offset0:30 offset1:35
	ds_load_2addr_b32 v[41:42], v83 offset0:60 offset1:65
	;; [unrolled: 1-line block ×4, first 2 shown]
	ds_load_2addr_b32 v[37:38], v83 offset1:5
	s_wait_dscnt 0x4
	v_lshrrev_b32_e32 v165, 16, v39
	s_wait_dscnt 0x3
	v_lshrrev_b32_e32 v163, 16, v41
	;; [unrolled: 2-line block ×3, first 2 shown]
	s_wait_dscnt 0x1
	v_add_f16_e32 v47, v39, v43
	v_lshrrev_b32_e32 v166, 16, v43
	s_wait_dscnt 0x0
	v_lshrrev_b32_e32 v181, 16, v37
	v_sub_f16_e64 v167, v45, v43
	v_add_f16_e64 v49, v163, v164
	v_fma_f16 v179, -0.5, v47, v37
	v_add_f16_e64 v50, v165, v166
	ds_load_2addr_b32 v[51:52], v83 offset0:100 offset1:105
	ds_load_2addr_b32 v[47:48], v83 offset0:130 offset1:135
	;; [unrolled: 1-line block ×4, first 2 shown]
	v_sub_f16_e64 v168, v41, v39
	v_fma_f16 v182, -0.5, v49, v181
	v_sub_f16_e64 v169, v163, v165
	v_fmac_f16_e64 v181, -0.5, v50
	ds_load_2addr_b32 v[49:50], v83 offset0:10 offset1:15
	v_sub_f16_e64 v170, v164, v166
	v_sub_f16_e64 v177, v163, v164
	v_add_f16_e64 v167, v168, v167
	v_sub_f16_e64 v178, v165, v166
	v_sub_f16_e64 v164, v166, v164
	v_add_f16_e64 v168, v169, v170
	v_fma_f16 v180, 0x3b9c, v177, v179
	v_fmac_f16_e64 v179, 0xbb9c, v177
	v_add_f16_e64 v166, v41, v45
	v_sub_f16_e64 v185, v39, v43
	v_sub_f16_e64 v183, v41, v45
	s_wait_dscnt 0x4
	v_lshrrev_b32_e32 v170, 16, v52
	s_wait_dscnt 0x3
	v_lshrrev_b32_e32 v172, 16, v48
	;; [unrolled: 2-line block ×4, first 2 shown]
	v_fmac_f16_e64 v180, 0xb8b4, v178
	v_fmac_f16_e64 v179, 0x38b4, v178
	v_add_f16_e64 v187, v54, v48
	v_add_f16_e64 v175, v169, v170
	s_wait_dscnt 0x0
	v_lshrrev_b32_e32 v176, 16, v50
	v_add_f16_e64 v186, v171, v172
	v_fmac_f16_e64 v180, 0x34f2, v167
	v_fmac_f16_e64 v179, 0x34f2, v167
	v_fma_f16 v167, -0.5, v187, v50
	v_fma_f16 v188, -0.5, v175, v176
	v_fmac_f16_e64 v176, -0.5, v186
	v_sub_f16_e64 v186, v56, v52
	v_sub_f16_e64 v187, v169, v170
	;; [unrolled: 1-line block ×5, first 2 shown]
	v_fma_f16 v190, 0xbb9c, v186, v176
	v_fmac_f16_e64 v176, 0x3b9c, v186
	v_sub_f16_e64 v173, v52, v48
	v_sub_f16_e64 v174, v56, v54
	v_fma_f16 v192, 0x3b9c, v187, v167
	v_fmac_f16_e64 v167, 0xbb9c, v187
	v_sub_f16_e64 v193, v171, v172
	v_add_f16_e64 v175, v175, v189
	v_fmac_f16_e64 v176, 0xb8b4, v191
	v_add_f16_e64 v173, v174, v173
	v_fmac_f16_e64 v190, 0x38b4, v191
	v_fmac_f16_e64 v167, 0x38b4, v193
	;; [unrolled: 1-line block ×4, first 2 shown]
	v_sub_f16_e64 v169, v171, v169
	v_fmac_f16_e64 v190, 0x34f2, v175
	v_fmac_f16_e64 v167, 0x34f2, v173
	v_fmac_f16_e64 v192, 0x34f2, v173
	v_mul_f16_e64 v189, 0xbb9c, v176
	v_mul_f16_e64 v194, 0xb4f2, v176
	;; [unrolled: 1-line block ×4, first 2 shown]
	v_sub_f16_e64 v170, v172, v170
	v_fmac_f16_e64 v189, 0xb4f2, v167
	v_fmac_f16_e64 v194, 0x3b9c, v167
	v_add_f16_e64 v167, v56, v52
	v_fmac_f16_e64 v195, 0x34f2, v192
	v_fmac_f16_e64 v190, 0x3b9c, v192
	v_sub_f16_e64 v171, v48, v52
	v_sub_f16_e64 v172, v54, v56
	v_fma_f16 v192, -0.5, v167, v50
	v_fma_f16 v167, 0x3b9c, v191, v188
	v_add_f16_e64 v196, v169, v170
	v_fma_f16 v199, -0.5, v166, v37
	v_add_f16_e64 v197, v172, v171
	v_fma_f16 v169, 0xbb9c, v193, v192
	v_fmac_f16_e64 v167, 0x38b4, v186
	v_sub_f16_e64 v163, v165, v163
	v_sub_f16_e64 v165, v43, v45
	;; [unrolled: 1-line block ×3, first 2 shown]
	v_fmac_f16_e64 v169, 0xb8b4, v187
	v_fmac_f16_e64 v167, 0x34f2, v196
	v_pk_add_f16 v37, v37, v39
	v_fma_f16 v39, 0xbb9c, v178, v199
	v_fma_f16 v202, 0x3b9c, v185, v182
	v_fmac_f16_e64 v169, 0x34f2, v197
	v_fma_f16 v184, 0xbb9c, v183, v181
	v_mul_f16_e64 v198, 0xb8b4, v167
	v_add_f16_e64 v200, v170, v165
	v_add_f16_e64 v201, v163, v164
	v_pk_add_f16 v50, v50, v54
	v_mul_f16_e64 v54, 0x38b4, v169
	v_pk_add_f16 v37, v37, v41
	v_fmac_f16_e64 v39, 0xb8b4, v177
	v_fmac_f16_e64 v202, 0x38b4, v183
	;; [unrolled: 1-line block ×5, first 2 shown]
	v_pk_add_f16 v41, v50, v56
	v_fmac_f16_e64 v54, 0x3a79, v167
	v_pk_add_f16 v37, v37, v45
	v_fmac_f16_e64 v39, 0x34f2, v200
	v_fmac_f16_e64 v202, 0x34f2, v201
	;; [unrolled: 1-line block ×6, first 2 shown]
	v_pk_add_f16 v41, v41, v52
	v_pk_add_f16 v37, v37, v43
	v_add_f16_e64 v43, v39, v198
	v_add_f16_e64 v50, v202, v54
	v_fmac_f16_e64 v199, 0x3b9c, v178
	v_fmac_f16_e64 v182, 0xbb9c, v185
	;; [unrolled: 1-line block ×5, first 2 shown]
	v_add_f16_e64 v171, v180, v195
	v_add_f16_e64 v45, v184, v190
	v_pk_add_f16 v41, v41, v48
	v_pack_b32_f16 v166, v43, v50
	v_fmac_f16_e64 v199, 0x38b4, v177
	v_fmac_f16_e64 v182, 0xb8b4, v183
	;; [unrolled: 1-line block ×3, first 2 shown]
	v_mul_f16_e64 v48, 0xb8b4, v188
	v_mul_f16_e64 v50, 0xba79, v188
	v_fmac_f16_e64 v181, 0x34f2, v168
	v_pack_b32_f16 v163, v171, v45
	v_sub_f16_e64 v43, v180, v195
	v_sub_f16_e64 v45, v184, v190
	v_sub_f16_e64 v39, v39, v198
	v_sub_f16_e64 v52, v202, v54
	v_fmac_f16_e64 v199, 0x34f2, v200
	v_fmac_f16_e64 v182, 0x34f2, v201
	;; [unrolled: 1-line block ×4, first 2 shown]
	v_add_f16_e64 v168, v179, v189
	v_add_f16_e64 v173, v181, v194
	v_pack_b32_f16 v178, v43, v45
	v_pack_b32_f16 v177, v39, v52
	v_add_f16_e64 v39, v199, v48
	v_add_f16_e64 v43, v182, v50
	v_sub_f16_e64 v48, v199, v48
	v_sub_f16_e64 v50, v182, v50
	v_pk_add_f16 v54, v38, v40
	v_sub_f16_e64 v45, v179, v189
	v_sub_f16_e64 v52, v181, v194
	v_pack_b32_f16 v164, v168, v173
	v_pk_add_f16 v165, v37, v41
	ds_load_2addr_b32 v[167:168], v83 offset0:20 offset1:25
	ds_load_2addr_b32 v[169:170], v83 offset0:50 offset1:55
	;; [unrolled: 1-line block ×5, first 2 shown]
	v_pk_add_f16 v180, v37, v41 neg_lo:[0,1] neg_hi:[0,1]
	v_pack_b32_f16 v182, v48, v50
	v_pk_add_f16 v37, v54, v42
	v_lshrrev_b32_e32 v41, 16, v46
	v_add_f16_e32 v48, v40, v44
	v_lshrrev_b32_e32 v50, 16, v42
	v_pack_b32_f16 v179, v39, v43
	v_pack_b32_f16 v181, v45, v52
	global_wb scope:SCOPE_SE
	s_wait_dscnt 0x0
	s_barrier_signal -1
	s_barrier_wait -1
	global_inv scope:SCOPE_SE
	ds_store_2addr_b64 v124, v[165:166], v[163:164] offset1:1
	ds_store_2addr_b64 v124, v[179:180], v[177:178] offset0:2 offset1:3
	ds_store_b64 v124, v[181:182] offset:32
	v_pk_add_f16 v37, v37, v46
	v_lshrrev_b32_e32 v54, 16, v40
	v_fma_f16 v48, -0.5, v48, v38
	v_sub_f16_e32 v56, v50, v41
	v_lshrrev_b32_e32 v124, 16, v44
	v_add_f16_e32 v39, v42, v46
	v_sub_f16_e32 v43, v44, v46
	v_sub_f16_e32 v45, v46, v44
	;; [unrolled: 1-line block ×5, first 2 shown]
	v_sub_f16_e64 v163, v40, v44
	v_pk_add_f16 v44, v37, v44
	v_fmamk_f16 v37, v56, 0x3b9c, v48
	v_sub_f16_e64 v164, v54, v124
	v_fmac_f16_e32 v48, 0xbb9c, v56
	v_lshrrev_b32_e32 v165, 16, v38
	v_add_f16_e32 v40, v50, v41
	v_add_f16_e32 v42, v42, v45
	v_fmac_f16_e64 v37, 0xb8b4, v164
	v_add_f16_e32 v45, v54, v124
	v_fmac_f16_e64 v48, 0x38b4, v164
	v_fma_f16 v166, -0.5, v40, v165
	v_sub_f16_e32 v40, v50, v54
	v_sub_f16_e64 v177, v41, v124
	v_fmac_f16_e64 v165, -0.5, v45
	v_fma_f16 v45, -0.5, v39, v38
	v_fmac_f16_e32 v37, 0x34f2, v42
	v_fmac_f16_e32 v48, 0x34f2, v42
	v_add_f16_e64 v38, v40, v177
	v_lshrrev_b32_e32 v40, 16, v171
	v_lshrrev_b32_e32 v42, 16, v173
	;; [unrolled: 1-line block ×5, first 2 shown]
	v_add_f16_e64 v183, v169, v175
	v_add_f16_e64 v179, v40, v42
	v_sub_f16_e64 v185, v40, v42
	v_add_f16_e64 v181, v177, v178
	v_sub_f16_e64 v186, v40, v177
	v_fma_f16 v183, -0.5, v183, v167
	v_fma_f16 v179, -0.5, v179, v180
	v_sub_f16_e64 v187, v42, v178
	v_fmac_f16_e64 v180, -0.5, v181
	v_sub_f16_e64 v181, v171, v173
	v_sub_f16_e64 v189, v169, v175
	v_sub_f16_e64 v182, v173, v175
	v_sub_f16_e64 v184, v171, v169
	v_fma_f16 v190, 0x3b9c, v185, v183
	v_fma_f16 v188, 0xbb9c, v181, v180
	v_fmac_f16_e64 v180, 0x3b9c, v181
	v_fmac_f16_e64 v183, 0xbb9c, v185
	v_sub_f16_e64 v191, v177, v178
	v_add_f16_e64 v186, v186, v187
	v_add_f16_e64 v182, v184, v182
	v_fmac_f16_e64 v180, 0xb8b4, v189
	v_fma_f16 v39, 0xbb9c, v46, v165
	v_fmac_f16_e64 v183, 0x38b4, v191
	v_fmac_f16_e64 v165, 0x3b9c, v46
	;; [unrolled: 1-line block ×8, first 2 shown]
	v_mul_f16_e64 v184, 0xbb9c, v180
	v_mul_f16_e64 v180, 0xb4f2, v180
	v_fmac_f16_e64 v188, 0x34f2, v186
	v_sub_f16_e64 v40, v177, v40
	v_fmac_f16_e32 v39, 0x34f2, v38
	v_fmac_f16_e64 v184, 0xb4f2, v183
	v_fmac_f16_e64 v180, 0x3b9c, v183
	v_add_f16_e64 v183, v171, v173
	v_fmac_f16_e64 v165, 0x34f2, v38
	v_fmac_f16_e64 v190, 0x34f2, v182
	v_mul_f16_e64 v38, 0xbb9c, v188
	v_mul_f16_e64 v182, 0x34f2, v188
	v_fma_f16 v177, -0.5, v183, v167
	v_sub_f16_e64 v183, v175, v173
	v_sub_f16_e64 v187, v169, v171
	;; [unrolled: 1-line block ×3, first 2 shown]
	v_fma_f16 v178, 0x3b9c, v189, v179
	v_fma_f16 v188, 0xbb9c, v191, v177
	v_sub_f16_e32 v41, v124, v41
	v_add_f16_e64 v183, v187, v183
	v_add_f16_e32 v42, v40, v42
	v_fmac_f16_e64 v178, 0x38b4, v181
	v_fmac_f16_e64 v188, 0xb8b4, v185
	v_sub_f16_e32 v40, v54, v50
	v_add_f16_e32 v43, v52, v43
	v_fma_f16 v50, 0xbb9c, v164, v45
	v_fmac_f16_e64 v178, 0x34f2, v42
	v_fmac_f16_e64 v188, 0x34f2, v183
	v_fma_f16 v52, 0x3b9c, v163, v166
	v_fmac_f16_e64 v179, 0xbb9c, v189
	v_add_f16_e32 v41, v40, v41
	v_mul_f16_e64 v54, 0xb8b4, v178
	v_mul_f16_e64 v124, 0x38b4, v188
	v_fmac_f16_e32 v50, 0xb8b4, v56
	v_fmac_f16_e32 v52, 0x38b4, v46
	v_fmac_f16_e64 v45, 0x3b9c, v164
	v_fmac_f16_e64 v177, 0x3b9c, v191
	v_pk_add_f16 v164, v167, v169
	v_fmac_f16_e64 v179, 0xb8b4, v181
	v_fmac_f16_e64 v182, 0x3b9c, v190
	v_fmac_f16_e64 v54, 0x3a79, v188
	v_fmac_f16_e64 v124, 0x3a79, v178
	v_fmac_f16_e32 v50, 0x34f2, v43
	v_fmac_f16_e32 v52, 0x34f2, v41
	v_fmac_f16_e64 v166, 0xbb9c, v163
	v_fmac_f16_e32 v45, 0x38b4, v56
	v_fmac_f16_e64 v177, 0x38b4, v185
	v_pk_add_f16 v56, v164, v171
	v_fmac_f16_e64 v179, 0x34f2, v42
	v_add_f16_e64 v178, v39, v182
	v_sub_f16_e64 v39, v39, v182
	v_sub_f16_e64 v182, v50, v54
	v_sub_f16_e64 v188, v52, v124
	v_fmac_f16_e64 v166, 0xb8b4, v46
	v_fmac_f16_e32 v45, 0x34f2, v43
	v_fmac_f16_e64 v177, 0x34f2, v183
	v_pk_add_f16 v42, v56, v173
	v_mul_f16_e64 v43, 0xb8b4, v179
	v_add_f16_e32 v46, v50, v54
	v_mul_f16_e64 v50, 0xba79, v179
	v_add_f16_e32 v52, v52, v124
	v_pk_add_f16 v54, v42, v175
	v_fmac_f16_e64 v43, 0xba79, v177
	v_fmac_f16_e64 v166, 0x34f2, v41
	v_fmac_f16_e64 v50, 0x38b4, v177
	v_pack_b32_f16 v42, v46, v52
	v_pk_add_f16 v52, v49, v53
	v_add_f16_e64 v186, v48, v184
	v_add_f16_e32 v46, v45, v43
	v_sub_f16_e64 v48, v48, v184
	v_add_f16_e64 v56, v166, v50
	v_sub_f16_e32 v45, v45, v43
	v_sub_f16_e64 v50, v166, v50
	v_sub_f16_e64 v124, v165, v180
	v_pk_add_f16 v52, v52, v55
	v_pack_b32_f16 v43, v46, v56
	v_lshrrev_b32_e32 v163, 16, v55
	v_pack_b32_f16 v46, v45, v50
	v_pack_b32_f16 v45, v48, v124
	v_pk_add_f16 v48, v52, v51
	v_lshrrev_b32_e32 v52, 16, v51
	v_add_f16_e32 v124, v53, v47
	v_lshrrev_b32_e32 v166, 16, v53
	v_lshrrev_b32_e32 v167, 16, v47
	v_fmac_f16_e64 v38, 0x34f2, v190
	v_add_f16_e64 v190, v165, v180
	v_fma_f16 v124, -0.5, v124, v49
	v_sub_f16_e64 v165, v163, v52
	v_pk_add_f16 v41, v44, v54
	v_pk_add_f16 v44, v44, v54 neg_lo:[0,1] neg_hi:[0,1]
	v_add_f16_e32 v50, v55, v51
	v_sub_f16_e32 v54, v47, v51
	v_sub_f16_e32 v56, v51, v47
	;; [unrolled: 1-line block ×3, first 2 shown]
	v_sub_f16_e64 v164, v53, v55
	v_sub_f16_e32 v55, v55, v53
	v_sub_f16_e32 v53, v53, v47
	v_pk_add_f16 v169, v48, v47
	v_lshrrev_b32_e32 v173, 16, v49
	v_add_f16_e64 v47, v163, v52
	v_add_f16_e64 v48, v166, v167
	v_add_f16_e32 v40, v37, v38
	v_fma_f16 v171, 0x3b9c, v165, v124
	v_sub_f16_e64 v175, v166, v167
	v_fmac_f16_e64 v124, 0xbb9c, v165
	v_add_f16_e32 v55, v55, v56
	v_fma_f16 v56, -0.5, v47, v173
	v_fmac_f16_e64 v173, -0.5, v48
	v_sub_f16_e64 v187, v37, v38
	v_pack_b32_f16 v37, v40, v178
	v_fmac_f16_e64 v171, 0xb8b4, v175
	v_fmac_f16_e64 v124, 0x38b4, v175
	v_sub_f16_e64 v47, v163, v166
	v_sub_f16_e64 v48, v52, v167
	v_pk_add_f16 v178, v168, v170
	v_fma_f16 v177, 0xbb9c, v51, v173
	v_fmac_f16_e64 v173, 0x3b9c, v51
	v_fma_f16 v179, -0.5, v50, v49
	v_add_f16_e32 v47, v47, v48
	v_pk_add_f16 v48, v178, v172
	v_fmac_f16_e64 v171, 0x34f2, v55
	v_fmac_f16_e32 v124, 0x34f2, v55
	v_lshrrev_b32_e32 v49, 16, v174
	v_lshrrev_b32_e32 v50, 16, v172
	v_lshrrev_b32_e32 v55, 16, v170
	v_lshrrev_b32_e32 v178, 16, v176
	v_fmac_f16_e64 v177, 0x38b4, v53
	v_fmac_f16_e64 v173, 0xb8b4, v53
	v_pack_b32_f16 v40, v187, v39
	v_pack_b32_f16 v39, v182, v188
	v_lshrrev_b32_e32 v182, 16, v168
	v_add_f16_e64 v183, v50, v49
	v_add_f16_e64 v184, v55, v178
	v_fmac_f16_e64 v177, 0x34f2, v47
	v_fmac_f16_e64 v173, 0x34f2, v47
	v_pk_add_f16 v47, v48, v174
	v_add_f16_e64 v48, v172, v174
	v_add_f16_e64 v185, v170, v176
	v_sub_f16_e64 v181, v172, v174
	v_fma_f16 v183, -0.5, v183, v182
	v_fmac_f16_e64 v182, -0.5, v184
	v_sub_f16_e64 v187, v170, v176
	v_fma_f16 v184, -0.5, v185, v168
	v_sub_f16_e64 v192, v55, v178
	v_fma_f16 v168, -0.5, v48, v168
	v_pack_b32_f16 v38, v186, v190
	v_sub_f16_e64 v185, v50, v49
	v_sub_f16_e64 v188, v50, v55
	;; [unrolled: 1-line block ×3, first 2 shown]
	v_fma_f16 v190, 0xbb9c, v181, v182
	v_sub_f16_e64 v180, v174, v176
	v_sub_f16_e64 v186, v172, v170
	v_fmac_f16_e64 v182, 0x3b9c, v181
	v_sub_f16_e64 v174, v176, v174
	v_sub_f16_e64 v170, v170, v172
	v_sub_f16_e32 v50, v55, v50
	v_sub_f16_e64 v49, v178, v49
	v_fma_f16 v55, 0x3b9c, v187, v183
	v_fma_f16 v178, 0xbb9c, v192, v168
	;; [unrolled: 1-line block ×3, first 2 shown]
	v_add_f16_e64 v188, v188, v189
	v_fmac_f16_e64 v190, 0x38b4, v187
	v_fmac_f16_e64 v183, 0xbb9c, v187
	;; [unrolled: 1-line block ×4, first 2 shown]
	v_add_f16_e64 v170, v170, v174
	v_add_f16_e32 v49, v50, v49
	v_fmac_f16_e64 v55, 0x38b4, v181
	v_fmac_f16_e64 v178, 0xb8b4, v185
	v_sub_f16_e64 v50, v166, v163
	v_sub_f16_e64 v52, v167, v52
	v_add_f16_e64 v180, v186, v180
	v_fmac_f16_e64 v191, 0xb8b4, v192
	v_fmac_f16_e64 v190, 0x34f2, v188
	;; [unrolled: 1-line block ×6, first 2 shown]
	v_fmac_f16_e32 v55, 0x34f2, v49
	v_fmac_f16_e64 v178, 0x34f2, v170
	v_fma_f16 v166, 0xbb9c, v175, v179
	v_add_f16_e32 v50, v50, v52
	v_fmamk_f16 v52, v53, 0x3b9c, v56
	v_fmac_f16_e64 v191, 0x34f2, v180
	v_mul_f16_e64 v186, 0xbb9c, v190
	v_mul_f16_e64 v172, 0x34f2, v190
	v_fmac_f16_e64 v179, 0x3b9c, v175
	v_fmac_f16_e32 v56, 0xbb9c, v53
	v_fmac_f16_e64 v168, 0x38b4, v185
	v_fmac_f16_e64 v183, 0x34f2, v49
	;; [unrolled: 1-line block ×3, first 2 shown]
	v_mul_f16_e64 v180, 0xbb9c, v182
	v_mul_f16_e64 v182, 0xb4f2, v182
	v_add_f16_e64 v54, v164, v54
	v_mul_f16_e64 v163, 0xb8b4, v55
	v_mul_f16_e64 v164, 0x38b4, v178
	v_fmac_f16_e64 v166, 0xb8b4, v165
	v_fmac_f16_e32 v52, 0x38b4, v51
	v_fmac_f16_e64 v186, 0x34f2, v191
	v_fmac_f16_e64 v172, 0x3b9c, v191
	;; [unrolled: 1-line block ×3, first 2 shown]
	v_fmac_f16_e32 v56, 0xb8b4, v51
	v_fmac_f16_e64 v168, 0x34f2, v170
	v_mul_f16_e64 v51, 0xb8b4, v183
	v_mul_f16_e64 v53, 0xba79, v183
	v_fmac_f16_e64 v180, 0xb4f2, v184
	v_fmac_f16_e64 v182, 0x3b9c, v184
	;; [unrolled: 1-line block ×5, first 2 shown]
	v_fmac_f16_e32 v52, 0x34f2, v50
	v_sub_f16_e64 v55, v171, v186
	v_sub_f16_e64 v167, v177, v172
	v_fmac_f16_e64 v179, 0x34f2, v54
	v_fmac_f16_e32 v56, 0x34f2, v50
	v_fmac_f16_e64 v51, 0xba79, v168
	v_fmac_f16_e64 v53, 0x38b4, v168
	v_add_f16_e64 v48, v124, v180
	v_add_f16_e64 v184, v173, v182
	;; [unrolled: 1-line block ×4, first 2 shown]
	v_pk_add_f16 v174, v47, v176
	v_sub_f16_e64 v49, v52, v164
	v_add_f16_e64 v54, v166, v163
	v_add_f16_e64 v52, v52, v164
	v_sub_f16_e64 v171, v166, v163
	v_pack_b32_f16 v50, v55, v167
	v_add_f16_e64 v55, v179, v51
	v_add_f16_e64 v163, v56, v53
	v_sub_f16_e64 v124, v124, v180
	v_sub_f16_e64 v164, v179, v51
	v_sub_f16_e32 v56, v56, v53
	v_sub_f16_e64 v165, v173, v182
	v_pack_b32_f16 v48, v48, v184
	v_pack_b32_f16 v47, v188, v189
	;; [unrolled: 1-line block ×3, first 2 shown]
	v_pk_add_f16 v51, v169, v174
	v_pack_b32_f16 v49, v171, v49
	v_pk_add_f16 v54, v169, v174 neg_lo:[0,1] neg_hi:[0,1]
	v_pack_b32_f16 v53, v55, v163
	v_pack_b32_f16 v56, v164, v56
	;; [unrolled: 1-line block ×3, first 2 shown]
	ds_store_2addr_b64 v122, v[41:42], v[37:38] offset1:1
	ds_store_2addr_b64 v122, v[43:44], v[39:40] offset0:2 offset1:3
	ds_store_b64 v122, v[45:46] offset:32
	ds_store_2addr_b64 v123, v[51:52], v[47:48] offset1:1
	ds_store_2addr_b64 v123, v[53:54], v[49:50] offset0:2 offset1:3
	ds_store_b64 v123, v[55:56] offset:32
	global_wb scope:SCOPE_SE
	s_wait_dscnt 0x0
	s_barrier_signal -1
	s_barrier_wait -1
	global_inv scope:SCOPE_SE
	ds_load_2addr_b32 v[37:38], v83 offset0:30 offset1:35
	ds_load_2addr_b32 v[39:40], v83 offset0:60 offset1:65
	ds_load_2addr_b32 v[41:42], v83 offset0:90 offset1:95
	ds_load_2addr_b32 v[43:44], v83 offset0:40 offset1:45
	ds_load_2addr_b32 v[45:46], v83 offset0:70 offset1:75
	ds_load_2addr_b32 v[47:48], v83 offset0:100 offset1:105
	ds_load_2addr_b32 v[49:50], v83 offset0:120 offset1:125
	ds_load_2addr_b32 v[51:52], v83 offset0:130 offset1:135
	s_wait_dscnt 0x7
	v_lshrrev_b32_e32 v53, 16, v37
	s_wait_dscnt 0x6
	v_lshrrev_b32_e32 v54, 16, v39
	v_mul_f16_e64 v123, v141, v37
	v_mul_f16_e64 v163, v139, v39
	s_wait_dscnt 0x5
	v_lshrrev_b32_e32 v55, 16, v41
	s_wait_dscnt 0x4
	v_lshrrev_b32_e32 v56, 16, v43
	;; [unrolled: 2-line block ×3, first 2 shown]
	v_mul_f16_e64 v167, v141, v53
	v_mul_f16_e64 v164, v140, v41
	v_fma_f16 v53, v12, v53, -v123
	v_mul_f16_e64 v168, v139, v54
	v_mul_f16_e64 v123, v141, v43
	v_fma_f16 v169, v13, v54, -v163
	v_mul_f16_e64 v54, v139, v45
	v_fma_f16 v170, v14, v55, -v164
	;; [unrolled: 2-line block ×4, first 2 shown]
	s_wait_dscnt 0x1
	v_lshrrev_b32_e32 v54, 16, v49
	s_wait_dscnt 0x0
	v_lshrrev_b32_e32 v123, 16, v51
	v_mul_f16_e64 v171, v137, v51
	v_fmac_f16_e64 v167, v12, v37
	v_lshrrev_b32_e32 v37, 16, v38
	v_lshrrev_b32_e32 v124, 16, v47
	v_mul_f16_e64 v122, v137, v49
	v_mul_f16_e64 v172, v137, v54
	;; [unrolled: 1-line block ×3, first 2 shown]
	v_fma_f16 v137, v15, v123, -v171
	v_mul_f16_e64 v171, v136, v37
	v_mul_f16_e64 v56, v140, v47
	;; [unrolled: 1-line block ×4, first 2 shown]
	v_fmac_f16_e64 v168, v13, v39
	v_fmac_f16_e64 v164, v12, v43
	;; [unrolled: 1-line block ×3, first 2 shown]
	v_lshrrev_b32_e32 v39, 16, v44
	v_fmac_f16_e64 v171, v0, v38
	v_mul_f16_e64 v38, v136, v38
	ds_load_2addr_b32 v[12:13], v83 offset0:50 offset1:55
	v_fma_f16 v140, v14, v124, -v56
	v_fma_f16 v122, v15, v54, -v122
	v_fmac_f16_e32 v55, v14, v41
	v_fmac_f16_e64 v172, v15, v49
	v_fmac_f16_e64 v165, v14, v47
	v_fmac_f16_e64 v166, v15, v51
	v_lshrrev_b32_e32 v41, 16, v40
	v_mul_f16_e64 v56, v136, v39
	v_lshrrev_b32_e32 v43, 16, v46
	v_lshrrev_b32_e32 v47, 16, v42
	;; [unrolled: 1-line block ×4, first 2 shown]
	ds_load_2addr_b32 v[14:15], v83 offset0:80 offset1:85
	v_fma_f16 v175, v0, v37, -v38
	ds_load_2addr_b32 v[37:38], v83 offset0:110 offset1:115
	v_mul_f16_e64 v173, v135, v41
	v_fmac_f16_e32 v56, v0, v44
	v_mul_f16_e64 v44, v136, v44
	v_mul_f16_e64 v51, v135, v43
	;; [unrolled: 1-line block ×5, first 2 shown]
	v_fmac_f16_e64 v173, v1, v40
	v_mul_f16_e64 v40, v135, v40
	v_fmac_f16_e32 v51, v1, v46
	v_mul_f16_e64 v124, v135, v46
	v_fmac_f16_e64 v136, v2, v42
	v_mul_f16_e64 v42, v131, v42
	v_fmac_f16_e32 v54, v2, v48
	v_mul_f16_e64 v48, v131, v48
	v_fmac_f16_e64 v174, v3, v50
	v_mul_f16_e32 v50, v127, v50
	ds_load_2addr_b32 v[45:46], v83 offset0:140 offset1:145
	v_fma_f16 v176, v1, v41, -v40
	v_lshrrev_b32_e32 v40, 16, v52
	v_fma_f16 v177, v2, v47, -v42
	v_fma_f16 v178, v3, v123, -v50
	;; [unrolled: 1-line block ×5, first 2 shown]
	v_mul_f16_e32 v0, v127, v52
	s_wait_dscnt 0x3
	v_lshrrev_b32_e32 v1, 16, v12
	v_mul_f16_e64 v2, v133, v12
	v_mul_f16_e64 v135, v127, v40
	s_wait_dscnt 0x2
	v_lshrrev_b32_e32 v41, 16, v14
	v_fma_f16 v127, v3, v40, -v0
	v_mul_f16_e64 v47, v133, v1
	v_fma_f16 v39, v8, v1, -v2
	v_mul_f16_e64 v0, v134, v14
	s_wait_dscnt 0x1
	v_lshrrev_b32_e32 v1, 16, v37
	v_mul_f16_e64 v2, v132, v37
	v_mul_f16_e64 v44, v134, v41
	v_fmac_f16_e64 v135, v3, v52
	v_fma_f16 v41, v9, v41, -v0
	v_mul_f16_e64 v48, v132, v1
	v_fma_f16 v42, v10, v1, -v2
	ds_load_2addr_b32 v[0:1], v83 offset1:5
	s_wait_dscnt 0x1
	v_lshrrev_b32_e32 v3, 16, v45
	v_mul_f16_e64 v40, v130, v45
	v_lshrrev_b32_e32 v2, 16, v13
	v_fmac_f16_e32 v47, v8, v12
	v_fmac_f16_e32 v44, v9, v14
	v_mul_f16_e64 v49, v130, v3
	v_fma_f16 v43, v11, v3, -v40
	v_lshrrev_b32_e32 v3, 16, v15
	v_mul_f16_e32 v12, v125, v2
	v_lshrrev_b32_e32 v40, 16, v38
	v_fmac_f16_e32 v48, v10, v37
	v_fmac_f16_e32 v49, v11, v45
	v_mul_f16_e64 v8, v128, v3
	v_fmac_f16_e32 v12, v4, v13
	v_mul_f16_e64 v9, v129, v40
	v_mul_f16_e32 v10, v125, v13
	v_lshrrev_b32_e32 v13, 16, v46
	v_mul_f16_e64 v11, v128, v15
	v_add_f16_e64 v37, v168, v55
	v_fmac_f16_e32 v8, v5, v15
	v_fmac_f16_e32 v9, v6, v38
	v_mul_f16_e64 v15, v129, v38
	v_mul_f16_e32 v14, v126, v13
	v_fma_f16 v10, v4, v2, -v10
	v_fma_f16 v11, v5, v3, -v11
	s_wait_dscnt 0x0
	v_fma_f16 v4, -0.5, v37, v0
	v_sub_f16_e32 v2, v53, v122
	v_mul_f16_e32 v3, v126, v46
	v_add_f16_e64 v38, v167, v172
	v_fma_f16 v5, v6, v40, -v15
	v_fmac_f16_e32 v14, v7, v46
	v_sub_f16_e64 v15, v167, v168
	v_sub_f16_e64 v37, v172, v55
	v_fmamk_f16 v6, v2, 0xbb9c, v4
	v_sub_f16_e64 v40, v169, v170
	v_fma_f16 v13, v7, v13, -v3
	v_fmac_f16_e32 v4, 0x3b9c, v2
	v_fma_f16 v7, -0.5, v38, v0
	v_add_f16_e64 v38, v0, v167
	v_add_f16_e32 v3, v15, v37
	v_fmac_f16_e32 v6, 0xb8b4, v40
	v_sub_f16_e64 v37, v168, v167
	v_sub_f16_e64 v45, v55, v172
	v_fmamk_f16 v15, v40, 0x3b9c, v7
	v_fmac_f16_e32 v7, 0xbb9c, v40
	v_fmac_f16_e32 v4, 0x38b4, v40
	v_add_f16_e64 v38, v38, v168
	v_add_f16_e32 v37, v37, v45
	v_fmac_f16_e32 v15, 0xb8b4, v2
	v_fmac_f16_e32 v7, 0x38b4, v2
	;; [unrolled: 1-line block ×3, first 2 shown]
	v_add_f16_e32 v2, v38, v55
	v_lshrrev_b32_e32 v0, 16, v0
	v_fmac_f16_e32 v4, 0x34f2, v3
	v_add_f16_e64 v3, v169, v170
	v_fmac_f16_e32 v15, 0x34f2, v37
	v_fmac_f16_e32 v7, 0x34f2, v37
	v_add_f16_e64 v37, v2, v172
	v_add_f16_e32 v2, v0, v53
	v_sub_f16_e64 v50, v167, v172
	v_sub_f16_e64 v40, v53, v169
	;; [unrolled: 1-line block ×3, first 2 shown]
	v_fma_f16 v38, -0.5, v3, v0
	v_add_f16_e32 v46, v53, v122
	v_add_f16_e64 v2, v2, v169
	v_sub_f16_e64 v3, v168, v55
	v_add_f16_e32 v52, v40, v45
	v_fmamk_f16 v40, v50, 0x3b9c, v38
	v_fmac_f16_e32 v38, 0xbb9c, v50
	v_fmac_f16_e32 v0, -0.5, v46
	v_add_f16_e64 v2, v2, v170
	v_sub_f16_e64 v53, v169, v53
	v_fmac_f16_e32 v40, 0x38b4, v3
	v_fmac_f16_e32 v38, 0xb8b4, v3
	v_fmamk_f16 v46, v3, 0xbb9c, v0
	v_fmac_f16_e32 v0, 0x3b9c, v3
	v_add_f16_e64 v3, v173, v136
	v_add_f16_e32 v45, v2, v122
	v_sub_f16_e64 v2, v170, v122
	v_fmac_f16_e32 v40, 0x34f2, v52
	v_fmac_f16_e32 v38, 0x34f2, v52
	;; [unrolled: 1-line block ×3, first 2 shown]
	v_sub_f16_e64 v52, v171, v173
	v_sub_f16_e64 v55, v174, v136
	v_fmac_f16_e32 v0, 0xb8b4, v50
	v_fma_f16 v50, -0.5, v3, v1
	v_sub_f16_e64 v3, v175, v178
	v_add_f16_e64 v125, v1, v171
	v_add_f16_e32 v2, v53, v2
	v_add_f16_e32 v122, v52, v55
	v_add_f16_e64 v55, v171, v174
	v_fmamk_f16 v53, v3, 0xbb9c, v50
	v_sub_f16_e64 v126, v176, v177
	v_fmac_f16_e32 v50, 0x3b9c, v3
	v_add_f16_e64 v125, v125, v173
	v_lshrrev_b32_e32 v52, 16, v1
	v_fmac_f16_e32 v1, -0.5, v55
	v_fmac_f16_e32 v53, 0xb8b4, v126
	v_fmac_f16_e32 v50, 0x38b4, v126
	;; [unrolled: 1-line block ×4, first 2 shown]
	v_add_f16_e64 v2, v125, v136
	v_sub_f16_e64 v128, v173, v171
	v_sub_f16_e64 v129, v136, v174
	v_fmamk_f16 v55, v126, 0x3b9c, v1
	v_fmac_f16_e32 v1, 0xbb9c, v126
	v_fmac_f16_e32 v53, 0x34f2, v122
	;; [unrolled: 1-line block ×3, first 2 shown]
	v_add_f16_e64 v122, v2, v174
	v_add_f16_e64 v2, v52, v175
	;; [unrolled: 1-line block ×3, first 2 shown]
	v_fmac_f16_e32 v55, 0xb8b4, v3
	v_fmac_f16_e32 v1, 0x38b4, v3
	v_add_f16_e64 v125, v176, v177
	v_add_f16_e64 v129, v2, v176
	ds_load_2addr_b32 v[2:3], v83 offset0:10 offset1:15
	v_fmac_f16_e32 v55, 0x34f2, v126
	v_fmac_f16_e32 v1, 0x34f2, v126
	v_sub_f16_e64 v133, v171, v174
	v_sub_f16_e64 v126, v175, v176
	v_sub_f16_e64 v128, v178, v177
	v_fma_f16 v125, -0.5, v125, v52
	v_add_f16_e64 v130, v175, v178
	v_sub_f16_e64 v132, v173, v136
	v_add_f16_e64 v167, v163, v165
	v_add_f16_e64 v126, v126, v128
	v_fma_f16 v128, 0x3b9c, v133, v125
	v_fmac_f16_e64 v125, 0xbb9c, v133
	v_fmac_f16_e64 v52, -0.5, v130
	v_sub_f16_e64 v134, v176, v175
	v_sub_f16_e64 v136, v177, v178
	v_fmac_f16_e64 v128, 0x38b4, v132
	v_fmac_f16_e64 v125, 0xb8b4, v132
	v_fma_f16 v130, 0xbb9c, v132, v52
	v_fmac_f16_e64 v52, 0x3b9c, v132
	v_add_f16_e64 v169, v164, v166
	v_fmac_f16_e64 v128, 0x34f2, v126
	v_fmac_f16_e32 v125, 0x34f2, v126
	s_wait_dscnt 0x0
	v_fma_f16 v126, -0.5, v167, v2
	v_sub_f16_e64 v167, v141, v137
	v_add_f16_e64 v136, v134, v136
	v_fmac_f16_e64 v130, 0x38b4, v133
	v_sub_f16_e64 v134, v164, v163
	v_sub_f16_e64 v168, v166, v165
	v_fma_f16 v132, 0xbb9c, v167, v126
	v_sub_f16_e64 v170, v139, v140
	v_fmac_f16_e64 v52, 0xb8b4, v133
	v_fma_f16 v133, -0.5, v169, v2
	v_fmac_f16_e64 v126, 0x3b9c, v167
	v_add_f16_e64 v172, v2, v164
	v_add_f16_e64 v168, v134, v168
	v_fmac_f16_e64 v132, 0xb8b4, v170
	v_fma_f16 v134, 0x3b9c, v170, v133
	v_fmac_f16_e64 v133, 0xbb9c, v170
	v_fmac_f16_e64 v126, 0x38b4, v170
	v_add_f16_e64 v170, v172, v163
	v_lshrrev_b32_e32 v2, 16, v2
	v_fmac_f16_e64 v134, 0xb8b4, v167
	v_fmac_f16_e64 v133, 0x38b4, v167
	;; [unrolled: 1-line block ×5, first 2 shown]
	v_add_f16_e64 v136, v170, v165
	v_fmac_f16_e64 v126, 0x34f2, v168
	v_add_f16_e64 v167, v2, v141
	v_add_f16_e64 v168, v139, v140
	v_sub_f16_e64 v169, v163, v164
	v_sub_f16_e64 v171, v165, v166
	v_add_f16_e64 v136, v136, v166
	v_sub_f16_e64 v166, v164, v166
	v_add_f16_e64 v167, v167, v139
	v_fma_f16 v164, -0.5, v168, v2
	v_add_f16_e64 v168, v141, v137
	v_add_f16_e64 v169, v169, v171
	v_sub_f16_e64 v165, v163, v165
	v_add_f16_e64 v167, v167, v140
	v_fma_f16 v163, 0x3b9c, v166, v164
	v_fmac_f16_e64 v164, 0xbb9c, v166
	v_fmac_f16_e64 v2, -0.5, v168
	v_fmac_f16_e64 v134, 0x34f2, v169
	v_fmac_f16_e64 v133, 0x34f2, v169
	v_sub_f16_e64 v169, v141, v139
	v_sub_f16_e64 v170, v137, v140
	;; [unrolled: 1-line block ×3, first 2 shown]
	v_add_f16_e64 v141, v167, v137
	v_fmac_f16_e64 v163, 0x38b4, v165
	v_fmac_f16_e64 v164, 0xb8b4, v165
	v_sub_f16_e64 v137, v140, v137
	v_fma_f16 v167, 0xbb9c, v165, v2
	v_fmac_f16_e64 v2, 0x3b9c, v165
	v_sub_f16_e64 v140, v56, v51
	v_sub_f16_e64 v165, v135, v54
	v_add_f16_e64 v169, v169, v170
	v_add_f16_e64 v137, v139, v137
	;; [unrolled: 1-line block ×3, first 2 shown]
	v_fmac_f16_e64 v167, 0x38b4, v166
	v_add_f16_e64 v140, v140, v165
	v_add_f16_e64 v165, v56, v135
	v_fmac_f16_e64 v163, 0x34f2, v169
	v_fmac_f16_e64 v164, 0x34f2, v169
	;; [unrolled: 1-line block ×3, first 2 shown]
	v_fma_f16 v166, -0.5, v139, v3
	v_sub_f16_e64 v139, v123, v127
	v_lshrrev_b32_e32 v168, 16, v3
	v_add_f16_e64 v169, v3, v56
	v_sub_f16_e64 v171, v124, v131
	v_fmac_f16_e64 v3, -0.5, v165
	v_fma_f16 v170, 0xbb9c, v139, v166
	v_fmac_f16_e64 v166, 0x3b9c, v139
	v_sub_f16_e64 v165, v51, v56
	v_sub_f16_e64 v172, v54, v135
	v_fma_f16 v173, 0x3b9c, v171, v3
	v_fmac_f16_e64 v3, 0xbb9c, v171
	v_fmac_f16_e64 v170, 0xb8b4, v171
	;; [unrolled: 1-line block ×3, first 2 shown]
	v_add_f16_e64 v165, v165, v172
	v_add_f16_e64 v169, v169, v51
	v_fmac_f16_e64 v173, 0xb8b4, v139
	v_fmac_f16_e64 v3, 0x38b4, v139
	v_add_f16_e64 v139, v168, v123
	v_fmac_f16_e64 v167, 0x34f2, v137
	v_fmac_f16_e64 v2, 0x34f2, v137
	;; [unrolled: 3-line block ×3, first 2 shown]
	v_fmac_f16_e64 v173, 0x34f2, v165
	v_fmac_f16_e64 v3, 0x34f2, v165
	v_add_f16_e64 v165, v124, v131
	v_add_f16_e64 v171, v139, v124
	ds_load_2addr_b32 v[139:140], v83 offset0:20 offset1:25
	v_add_f16_e64 v137, v137, v135
	v_sub_f16_e64 v56, v56, v135
	v_sub_f16_e64 v135, v123, v124
	;; [unrolled: 1-line block ×3, first 2 shown]
	v_fma_f16 v165, -0.5, v165, v168
	v_add_f16_e64 v172, v123, v127
	v_sub_f16_e32 v51, v51, v54
	v_sub_f16_e32 v123, v124, v123
	v_add_f16_e64 v54, v135, v169
	v_add_f16_e64 v135, v171, v131
	v_fma_f16 v169, 0x3b9c, v56, v165
	v_fmac_f16_e64 v165, 0xbb9c, v56
	v_fmac_f16_e64 v168, -0.5, v172
	v_add_f16_e64 v171, v47, v49
	v_add_f16_e64 v124, v135, v127
	v_sub_f16_e64 v127, v131, v127
	v_fmac_f16_e64 v169, 0x38b4, v51
	v_fmac_f16_e64 v165, 0xb8b4, v51
	v_add_f16_e64 v135, v44, v48
	v_fma_f16 v131, 0xbb9c, v51, v168
	v_fmac_f16_e64 v168, 0x3b9c, v51
	v_fmac_f16_e64 v169, 0x34f2, v54
	;; [unrolled: 1-line block ×3, first 2 shown]
	v_add_f16_e32 v51, v123, v127
	s_wait_dscnt 0x0
	v_fma_f16 v54, -0.5, v135, v139
	v_sub_f16_e32 v127, v47, v44
	v_sub_f16_e64 v135, v49, v48
	v_sub_f16_e32 v123, v39, v43
	v_fmac_f16_e64 v131, 0x38b4, v56
	v_sub_f16_e64 v174, v41, v42
	v_fmac_f16_e64 v168, 0xb8b4, v56
	v_add_f16_e64 v56, v127, v135
	v_fma_f16 v127, -0.5, v171, v139
	v_sub_f16_e64 v135, v44, v47
	v_sub_f16_e64 v171, v48, v49
	v_add_f16_e64 v176, v139, v47
	v_fma_f16 v172, 0xbb9c, v123, v54
	v_fmac_f16_e32 v54, 0x3b9c, v123
	v_fma_f16 v175, 0x3b9c, v174, v127
	v_fmac_f16_e64 v127, 0xbb9c, v174
	v_add_f16_e64 v135, v135, v171
	v_add_f16_e64 v171, v176, v44
	v_fmac_f16_e64 v172, 0xb8b4, v174
	v_fmac_f16_e64 v54, 0x38b4, v174
	;; [unrolled: 1-line block ×3, first 2 shown]
	v_fmac_f16_e32 v127, 0x38b4, v123
	v_fmac_f16_e64 v131, 0x34f2, v51
	v_fmac_f16_e64 v168, 0x34f2, v51
	v_add_f16_e64 v51, v171, v48
	v_lshrrev_b32_e32 v123, 16, v139
	v_fmac_f16_e64 v172, 0x34f2, v56
	v_fmac_f16_e32 v54, 0x34f2, v56
	v_sub_f16_e32 v47, v47, v49
	v_add_f16_e32 v51, v51, v49
	v_add_f16_e32 v56, v123, v39
	;; [unrolled: 1-line block ×3, first 2 shown]
	v_fmac_f16_e64 v175, 0x34f2, v135
	v_fmac_f16_e64 v127, 0x34f2, v135
	v_sub_f16_e64 v135, v39, v41
	v_sub_f16_e64 v139, v43, v42
	v_add_f16_e32 v56, v56, v41
	v_add_f16_e64 v171, v39, v43
	v_fma_f16 v49, -0.5, v49, v123
	v_sub_f16_e32 v44, v44, v48
	v_add_f16_e64 v48, v135, v139
	v_add_f16_e32 v56, v56, v42
	v_fmac_f16_e64 v123, -0.5, v171
	v_fma_f16 v135, 0x3b9c, v47, v49
	v_fmac_f16_e32 v49, 0xbb9c, v47
	v_sub_f16_e32 v39, v41, v39
	v_add_f16_e32 v41, v56, v43
	v_sub_f16_e32 v42, v42, v43
	v_fmac_f16_e64 v135, 0x38b4, v44
	v_fmac_f16_e32 v49, 0xb8b4, v44
	v_fmamk_f16 v43, v44, 0xbb9c, v123
	v_fmac_f16_e32 v123, 0x3b9c, v44
	v_add_f16_e32 v44, v8, v9
	v_fmac_f16_e64 v135, 0x34f2, v48
	v_fmac_f16_e32 v49, 0x34f2, v48
	v_add_f16_e32 v39, v39, v42
	v_sub_f16_e32 v42, v12, v8
	v_fma_f16 v44, -0.5, v44, v140
	v_add_f16_e32 v48, v12, v14
	v_sub_f16_e32 v56, v10, v13
	v_sub_f16_e64 v139, v14, v9
	v_lshrrev_b32_e32 v171, 16, v140
	v_add_f16_e64 v174, v140, v12
	v_fmac_f16_e64 v140, -0.5, v48
	v_fmamk_f16 v48, v56, 0xbb9c, v44
	v_sub_f16_e64 v176, v11, v5
	v_fmac_f16_e32 v44, 0x3b9c, v56
	v_fmac_f16_e32 v43, 0x38b4, v47
	;; [unrolled: 1-line block ×3, first 2 shown]
	v_add_f16_e64 v42, v42, v139
	v_sub_f16_e32 v47, v8, v12
	v_sub_f16_e64 v139, v9, v14
	v_add_f16_e64 v129, v129, v177
	v_fma_f16 v177, 0x3b9c, v176, v140
	v_fmac_f16_e64 v48, 0xb8b4, v176
	v_fmac_f16_e64 v140, 0xbb9c, v176
	;; [unrolled: 1-line block ×3, first 2 shown]
	v_add_f16_e64 v47, v47, v139
	v_add_f16_e64 v139, v174, v8
	v_fmac_f16_e64 v177, 0xb8b4, v56
	v_fmac_f16_e64 v140, 0x38b4, v56
	v_fmac_f16_e32 v43, 0x34f2, v39
	v_fmac_f16_e32 v123, 0x34f2, v39
	;; [unrolled: 1-line block ×3, first 2 shown]
	v_add_f16_e64 v39, v139, v9
	v_fmac_f16_e32 v44, 0x34f2, v42
	v_add_f16_e32 v42, v11, v5
	v_add_f16_e32 v56, v10, v13
	v_fmac_f16_e64 v177, 0x34f2, v47
	v_fmac_f16_e64 v140, 0x34f2, v47
	v_add_f16_e32 v39, v39, v14
	v_sub_f16_e32 v12, v12, v14
	v_sub_f16_e32 v14, v10, v11
	;; [unrolled: 1-line block ×3, first 2 shown]
	v_fma_f16 v42, -0.5, v42, v171
	v_add_f16_e64 v139, v171, v10
	v_sub_f16_e32 v8, v8, v9
	v_fmac_f16_e64 v171, -0.5, v56
	v_add_f16_e32 v9, v14, v47
	v_fmamk_f16 v14, v12, 0x3b9c, v42
	v_add_f16_e64 v47, v139, v11
	v_sub_f16_e32 v10, v11, v10
	v_fmac_f16_e32 v42, 0xbb9c, v12
	v_sub_f16_e32 v11, v5, v13
	v_fma_f16 v56, 0xbb9c, v8, v171
	v_fmac_f16_e64 v171, 0x3b9c, v8
	v_add_f16_e64 v129, v129, v178
	v_fmac_f16_e32 v14, 0x38b4, v8
	v_fmac_f16_e32 v42, 0xb8b4, v8
	v_add_f16_e32 v8, v10, v11
	v_fmac_f16_e32 v56, 0x38b4, v12
	v_fmac_f16_e64 v171, 0xb8b4, v12
	v_pack_b32_f16 v0, v7, v0
	v_pack_b32_f16 v7, v122, v129
	;; [unrolled: 1-line block ×3, first 2 shown]
	v_fmac_f16_e32 v56, 0x34f2, v8
	v_fmac_f16_e64 v171, 0x34f2, v8
	v_pack_b32_f16 v8, v37, v45
	v_pack_b32_f16 v10, v53, v128
	v_fmac_f16_e32 v14, 0x34f2, v9
	v_fmac_f16_e32 v42, 0x34f2, v9
	v_pack_b32_f16 v9, v15, v46
	v_pack_b32_f16 v11, v55, v130
	;; [unrolled: 1-line block ×5, first 2 shown]
	global_wb scope:SCOPE_SE
	s_barrier_signal -1
	s_barrier_wait -1
	global_inv scope:SCOPE_SE
	ds_store_2addr_b32 v83, v8, v7 offset1:5
	ds_store_2addr_b32 v83, v6, v10 offset0:10 offset1:15
	ds_store_2addr_b32 v83, v9, v11 offset0:20 offset1:25
	ds_store_2addr_b32 v83, v0, v1 offset0:30 offset1:35
	ds_store_2addr_b32 v83, v4, v12 offset0:40 offset1:45
	v_pack_b32_f16 v0, v136, v141
	v_pack_b32_f16 v1, v137, v124
	v_add_f16_e32 v5, v47, v5
	v_pack_b32_f16 v4, v132, v163
	v_pack_b32_f16 v6, v134, v167
	;; [unrolled: 1-line block ×3, first 2 shown]
	ds_store_2addr_b32 v83, v0, v1 offset0:50 offset1:55
	v_pack_b32_f16 v0, v170, v169
	v_pack_b32_f16 v1, v173, v131
	v_add_f16_e32 v5, v5, v13
	v_pack_b32_f16 v3, v3, v168
	v_pack_b32_f16 v7, v126, v164
	;; [unrolled: 1-line block ×5, first 2 shown]
	ds_store_2addr_b32 v83, v4, v0 offset0:60 offset1:65
	ds_store_2addr_b32 v83, v6, v1 offset0:70 offset1:75
	;; [unrolled: 1-line block ×5, first 2 shown]
	v_pack_b32_f16 v0, v175, v43
	v_pack_b32_f16 v1, v127, v123
	v_pack_b32_f16 v2, v54, v49
	v_pack_b32_f16 v3, v39, v5
	v_pack_b32_f16 v4, v48, v14
	v_pack_b32_f16 v5, v177, v56
	v_pack_b32_f16 v6, v140, v171
	v_pack_b32_f16 v7, v44, v42
	ds_store_2addr_b32 v138, v0, v1 offset0:120 offset1:130
	ds_store_b32 v138, v2 offset:560
	ds_store_2addr_b32 v142, v3, v4 offset0:100 offset1:110
	ds_store_2addr_b32 v142, v5, v6 offset0:120 offset1:130
	ds_store_b32 v142, v7 offset:560
	global_wb scope:SCOPE_SE
	s_wait_dscnt 0x0
	s_barrier_signal -1
	s_barrier_wait -1
	global_inv scope:SCOPE_SE
	ds_load_2addr_b32 v[0:1], v83 offset1:5
	ds_load_2addr_b32 v[2:3], v83 offset0:50 offset1:55
	ds_load_2addr_b32 v[4:5], v83 offset0:100 offset1:105
	;; [unrolled: 1-line block ×14, first 2 shown]
	s_wait_dscnt 0xe
	v_lshrrev_b32_e32 v51, 16, v0
	s_wait_dscnt 0xd
	v_lshrrev_b32_e32 v52, 16, v2
	;; [unrolled: 2-line block ×3, first 2 shown]
	v_mul_f16_e64 v139, v147, v2
	v_lshrrev_b32_e32 v55, 16, v3
	v_lshrrev_b32_e32 v56, 16, v5
	v_mul_f16_e64 v142, v148, v4
	v_mul_f16_e64 v147, v147, v52
	v_fma_f16 v52, v27, v52, -v139
	v_mul_f16_e64 v139, v148, v53
	s_wait_dscnt 0xa
	v_lshrrev_b32_e32 v123, 16, v8
	v_fma_f16 v53, v28, v53, -v142
	v_mul_f16_e64 v142, v145, v55
	s_wait_dscnt 0x9
	v_lshrrev_b32_e32 v124, 16, v10
	v_fmac_f16_e64 v139, v28, v4
	v_mul_f16_e64 v4, v146, v56
	v_lshrrev_b32_e32 v126, 16, v9
	v_fmac_f16_e64 v142, v17, v3
	v_mul_f16_e64 v3, v145, v3
	v_lshrrev_b32_e32 v127, 16, v11
	v_fmac_f16_e32 v4, v18, v5
	v_mul_f16_e64 v5, v146, v5
	v_mul_f16_e64 v146, v144, v123
	v_fma_f16 v3, v17, v55, -v3
	v_mul_f16_e64 v17, v144, v8
	s_wait_dscnt 0x7
	v_lshrrev_b32_e32 v129, 16, v14
	v_fma_f16 v5, v18, v56, -v5
	v_mul_f16_e64 v18, v143, v124
	v_fmac_f16_e64 v146, v19, v8
	v_mul_f16_e64 v8, v143, v10
	v_fma_f16 v17, v19, v123, -v17
	v_mul_f16_e64 v19, v149, v126
	v_fmac_f16_e32 v18, v20, v10
	v_mul_f16_e64 v10, v149, v9
	v_fma_f16 v8, v20, v124, -v8
	v_mul_f16_e64 v20, v150, v127
	s_wait_dscnt 0x6
	v_lshrrev_b32_e32 v130, 16, v37
	v_lshrrev_b32_e32 v132, 16, v15
	v_fmac_f16_e32 v19, v21, v9
	v_mul_f16_e64 v9, v150, v11
	v_fma_f16 v10, v21, v126, -v10
	v_mul_f16_e64 v21, v151, v129
	v_fmac_f16_e32 v20, v22, v11
	v_mul_f16_e64 v11, v151, v14
	v_lshrrev_b32_e32 v133, 16, v38
	v_fma_f16 v9, v22, v127, -v9
	v_mul_f16_e64 v22, v152, v130
	v_fmac_f16_e32 v21, v23, v14
	v_mul_f16_e64 v14, v152, v37
	v_fma_f16 v11, v23, v129, -v11
	v_mul_f16_e64 v23, v153, v132
	s_wait_dscnt 0x4
	v_lshrrev_b32_e32 v135, 16, v41
	s_wait_dscnt 0x3
	v_lshrrev_b32_e32 v136, 16, v43
	v_fmac_f16_e32 v22, v24, v37
	v_mul_f16_e64 v37, v153, v15
	v_fma_f16 v14, v24, v130, -v14
	v_mul_f16_e64 v24, v154, v133
	v_fmac_f16_e32 v23, v25, v15
	v_mul_f16_e64 v15, v154, v38
	v_lshrrev_b32_e32 v138, 16, v42
	v_fma_f16 v25, v25, v132, -v37
	v_mul_f16_e64 v37, v155, v135
	v_fmac_f16_e32 v24, v26, v38
	v_mul_f16_e64 v38, v155, v41
	v_fma_f16 v15, v26, v133, -v15
	v_mul_f16_e64 v26, v156, v136
	v_lshrrev_b32_e32 v140, 16, v44
	s_wait_dscnt 0x2
	v_lshrrev_b32_e32 v148, 16, v47
	v_fmac_f16_e32 v37, v31, v41
	v_mul_f16_e64 v41, v156, v43
	v_fma_f16 v31, v31, v135, -v38
	v_mul_f16_e64 v38, v157, v138
	v_fmac_f16_e32 v26, v32, v43
	v_mul_f16_e64 v43, v157, v42
	v_fmac_f16_e64 v147, v27, v2
	s_wait_dscnt 0x1
	v_lshrrev_b32_e32 v2, 16, v49
	v_fma_f16 v32, v32, v136, -v41
	v_mul_f16_e64 v41, v159, v140
	v_fmac_f16_e32 v38, v29, v42
	v_mul_f16_e64 v42, v159, v44
	v_fma_f16 v29, v29, v138, -v43
	v_mul_f16_e64 v43, v161, v148
	v_lshrrev_b32_e32 v28, 16, v48
	v_lshrrev_b32_e32 v145, 16, v50
	v_fmac_f16_e32 v41, v30, v44
	v_mul_f16_e64 v44, v161, v47
	v_fma_f16 v30, v30, v140, -v42
	v_mul_f16_e64 v42, v162, v2
	v_fmac_f16_e32 v43, v35, v47
	v_mul_f16_e64 v47, v162, v49
	v_fma_f16 v35, v35, v148, -v44
	v_mul_f16_e64 v44, v158, v28
	;; [unrolled: 4-line block ×3, first 2 shown]
	v_mul_f16_e64 v47, v160, v50
	v_fmac_f16_e32 v44, v33, v48
	v_fma_f16 v28, v33, v28, -v49
	v_add_f16_e64 v33, v147, v139
	v_fmac_f16_e32 v36, v34, v50
	v_fma_f16 v34, v34, v145, -v47
	v_add_f16_e32 v47, v52, v53
	v_add_f16_e64 v48, v0, v147
	v_fma_f16 v0, -0.5, v33, v0
	v_sub_f16_e32 v33, v52, v53
	v_add_f16_e32 v49, v51, v52
	v_fmac_f16_e32 v51, -0.5, v47
	v_sub_f16_e64 v47, v147, v139
	v_lshrrev_b32_e32 v54, 16, v1
	v_fmamk_f16 v50, v33, 0xbaee, v0
	v_fmac_f16_e32 v0, 0x3aee, v33
	v_add_f16_e32 v33, v49, v53
	v_add_f16_e64 v49, v142, v4
	v_fmamk_f16 v52, v47, 0x3aee, v51
	v_add_f16_e64 v53, v1, v142
	v_fmac_f16_e32 v51, 0xbaee, v47
	v_add_f16_e32 v47, v3, v5
	v_fmac_f16_e32 v1, -0.5, v49
	v_sub_f16_e32 v49, v3, v5
	v_add_f16_e32 v53, v53, v4
	v_add_f16_e32 v3, v54, v3
	v_fmac_f16_e32 v54, -0.5, v47
	v_sub_f16_e64 v4, v142, v4
	v_lshrrev_b32_e32 v122, 16, v6
	v_fmamk_f16 v47, v49, 0xbaee, v1
	v_fmac_f16_e32 v1, 0x3aee, v49
	v_add_f16_e32 v3, v3, v5
	v_add_f16_e64 v5, v146, v18
	v_fmamk_f16 v49, v4, 0x3aee, v54
	v_fmac_f16_e32 v54, 0xbaee, v4
	v_add_f16_e32 v4, v17, v8
	v_add_f16_e64 v55, v6, v146
	v_fma_f16 v5, -0.5, v5, v6
	v_sub_f16_e32 v6, v17, v8
	v_add_f16_e32 v17, v122, v17
	v_fmac_f16_e32 v122, -0.5, v4
	v_sub_f16_e64 v4, v146, v18
	v_lshrrev_b32_e32 v125, 16, v7
	v_add_f16_e32 v55, v55, v18
	v_fmamk_f16 v18, v6, 0xbaee, v5
	v_fmac_f16_e32 v5, 0x3aee, v6
	v_add_f16_e32 v6, v17, v8
	v_add_f16_e32 v8, v19, v20
	v_fmamk_f16 v17, v4, 0x3aee, v122
	v_fmac_f16_e32 v122, 0xbaee, v4
	v_add_f16_e32 v4, v10, v9
	v_add_f16_e32 v56, v7, v19
	v_fmac_f16_e32 v7, -0.5, v8
	v_sub_f16_e32 v8, v10, v9
	v_add_f16_e32 v10, v125, v10
	v_fmac_f16_e32 v125, -0.5, v4
	v_sub_f16_e32 v4, v19, v20
	v_lshrrev_b32_e32 v128, 16, v12
	v_fmamk_f16 v19, v8, 0xbaee, v7
	v_fmac_f16_e32 v7, 0x3aee, v8
	v_add_f16_e32 v8, v10, v9
	v_add_f16_e32 v9, v21, v22
	v_fmamk_f16 v10, v4, 0x3aee, v125
	v_fmac_f16_e32 v125, 0xbaee, v4
	v_add_f16_e32 v4, v11, v14
	v_add_f16_e32 v56, v56, v20
	;; [unrolled: 1-line block ×3, first 2 shown]
	v_fma_f16 v9, -0.5, v9, v12
	v_sub_f16_e32 v12, v11, v14
	v_add_f16_e64 v11, v128, v11
	v_fmac_f16_e64 v128, -0.5, v4
	v_sub_f16_e32 v4, v21, v22
	v_lshrrev_b32_e32 v131, 16, v13
	v_fmamk_f16 v21, v12, 0xbaee, v9
	v_fmac_f16_e32 v9, 0x3aee, v12
	v_add_f16_e32 v11, v11, v14
	v_add_f16_e32 v12, v23, v24
	v_fma_f16 v14, 0x3aee, v4, v128
	v_fmac_f16_e64 v128, 0xbaee, v4
	v_add_f16_e32 v4, v25, v15
	v_add_f16_e32 v20, v20, v22
	;; [unrolled: 1-line block ×3, first 2 shown]
	v_fmac_f16_e32 v13, -0.5, v12
	v_sub_f16_e32 v12, v25, v15
	v_add_f16_e64 v25, v131, v25
	v_fmac_f16_e64 v131, -0.5, v4
	v_sub_f16_e32 v4, v23, v24
	v_lshrrev_b32_e32 v134, 16, v39
	v_add_f16_e32 v22, v22, v24
	v_fmamk_f16 v23, v12, 0xbaee, v13
	v_fmac_f16_e32 v13, 0x3aee, v12
	v_add_f16_e32 v12, v25, v15
	v_add_f16_e32 v15, v37, v26
	v_fma_f16 v24, 0x3aee, v4, v131
	v_fmac_f16_e64 v131, 0xbaee, v4
	v_add_f16_e32 v4, v31, v32
	v_add_f16_e32 v25, v39, v37
	v_fma_f16 v15, -0.5, v15, v39
	v_sub_f16_e32 v39, v31, v32
	v_add_f16_e64 v31, v134, v31
	v_fmac_f16_e64 v134, -0.5, v4
	v_sub_f16_e32 v4, v37, v26
	v_lshrrev_b32_e32 v137, 16, v40
	v_add_f16_e32 v25, v25, v26
	v_add_f16_e32 v31, v31, v32
	;; [unrolled: 1-line block ×3, first 2 shown]
	v_fma_f16 v37, 0x3aee, v4, v134
	v_fmac_f16_e64 v134, 0xbaee, v4
	v_add_f16_e32 v4, v29, v30
	v_fmamk_f16 v26, v39, 0xbaee, v15
	v_fmac_f16_e32 v15, 0x3aee, v39
	v_add_f16_e32 v39, v40, v38
	v_fmac_f16_e32 v40, -0.5, v32
	v_sub_f16_e32 v32, v29, v30
	v_add_f16_e64 v29, v137, v29
	v_fmac_f16_e64 v137, -0.5, v4
	v_sub_f16_e32 v4, v38, v41
	s_wait_dscnt 0x0
	v_lshrrev_b32_e32 v141, 16, v45
	v_fmamk_f16 v38, v32, 0xbaee, v40
	v_fmac_f16_e32 v40, 0x3aee, v32
	v_add_f16_e32 v29, v29, v30
	v_add_f16_e32 v30, v43, v42
	v_fma_f16 v32, 0x3aee, v4, v137
	v_fmac_f16_e64 v137, 0xbaee, v4
	v_add_f16_e32 v4, v35, v2
	v_lshrrev_b32_e32 v27, 16, v46
	v_add_f16_e32 v39, v39, v41
	v_add_f16_e32 v41, v45, v43
	v_fma_f16 v30, -0.5, v30, v45
	v_sub_f16_e32 v45, v35, v2
	v_add_f16_e64 v35, v141, v35
	v_fmac_f16_e64 v141, -0.5, v4
	v_sub_f16_e32 v4, v43, v42
	v_add_f16_e32 v43, v44, v36
	v_add_f16_e64 v48, v48, v139
	v_add_f16_e32 v2, v35, v2
	v_add_f16_e32 v41, v41, v42
	v_fma_f16 v35, 0x3aee, v4, v141
	v_fmac_f16_e64 v141, 0xbaee, v4
	v_add_f16_e32 v4, v27, v28
	v_fmamk_f16 v42, v45, 0xbaee, v30
	v_fmac_f16_e32 v30, 0x3aee, v45
	v_add_f16_e32 v45, v46, v44
	v_fmac_f16_e32 v46, -0.5, v43
	v_sub_f16_e32 v43, v28, v34
	v_add_f16_e32 v28, v28, v34
	v_add_f16_e32 v4, v4, v34
	v_pack_b32_f16 v34, v50, v52
	v_pack_b32_f16 v0, v0, v51
	;; [unrolled: 1-line block ×4, first 2 shown]
	ds_store_b32 v83, v34 offset:200
	ds_store_b32 v83, v0 offset:400
	ds_store_2addr_b32 v83, v33, v3 offset1:5
	v_pack_b32_f16 v0, v47, v49
	v_pack_b32_f16 v3, v18, v17
	;; [unrolled: 1-line block ×6, first 2 shown]
	ds_store_2addr_b32 v83, v0, v3 offset0:55 offset1:60
	v_pack_b32_f16 v0, v19, v10
	v_pack_b32_f16 v3, v21, v14
	v_fmac_f16_e32 v27, -0.5, v28
	v_sub_f16_e32 v28, v44, v36
	ds_store_2addr_b32 v83, v1, v5 offset0:105 offset1:110
	ds_store_2addr_b32 v83, v6, v8 offset0:10 offset1:15
	v_pack_b32_f16 v1, v7, v125
	ds_store_2addr_b32 v83, v0, v3 offset0:65 offset1:70
	v_pack_b32_f16 v0, v9, v128
	v_pack_b32_f16 v5, v20, v11
	;; [unrolled: 1-line block ×3, first 2 shown]
	v_add_f16_e32 v45, v45, v36
	v_pack_b32_f16 v6, v23, v24
	v_pack_b32_f16 v9, v26, v37
	v_fmamk_f16 v123, v43, 0xbaee, v46
	v_fmamk_f16 v36, v28, 0x3aee, v27
	v_pack_b32_f16 v7, v13, v131
	v_pack_b32_f16 v10, v15, v134
	v_fmac_f16_e32 v46, 0x3aee, v43
	v_fmac_f16_e32 v27, 0xbaee, v28
	v_pack_b32_f16 v8, v25, v31
	v_pack_b32_f16 v11, v39, v29
	ds_store_2addr_b32 v83, v1, v0 offset0:115 offset1:120
	ds_store_2addr_b32 v83, v5, v3 offset0:20 offset1:25
	ds_store_2addr_b32 v83, v6, v9 offset0:75 offset1:80
	ds_store_2addr_b32 v83, v7, v10 offset0:125 offset1:130
	ds_store_2addr_b32 v83, v8, v11 offset0:30 offset1:35
	v_pack_b32_f16 v0, v38, v32
	v_pack_b32_f16 v3, v42, v35
	v_pack_b32_f16 v1, v40, v137
	v_pack_b32_f16 v5, v30, v141
	v_pack_b32_f16 v2, v41, v2
	v_pack_b32_f16 v4, v45, v4
	v_pack_b32_f16 v6, v123, v36
	v_pack_b32_f16 v7, v46, v27
	ds_store_2addr_b32 v83, v0, v3 offset0:85 offset1:90
	ds_store_2addr_b32 v83, v1, v5 offset0:135 offset1:140
	;; [unrolled: 1-line block ×3, first 2 shown]
	ds_store_b32 v83, v6 offset:380
	ds_store_b32 v83, v7 offset:580
	global_wb scope:SCOPE_SE
	s_wait_dscnt 0x0
	s_barrier_signal -1
	s_barrier_wait -1
	global_inv scope:SCOPE_SE
	ds_load_2addr_b32 v[13:14], v83 offset1:5
	ds_load_2addr_b32 v[6:7], v83 offset0:10 offset1:15
	s_wait_dscnt 0x1
	v_lshrrev_b32_e32 v2, 16, v13
	v_mul_f16_e32 v3, v121, v13
	s_wait_dscnt 0x0
	v_lshrrev_b32_e32 v8, 16, v7
	s_delay_alu instid0(VALU_DEP_3) | instskip(NEXT) | instid1(VALU_DEP_3)
	v_mul_f16_e32 v0, v121, v2
	v_fma_f16 v2, v118, v2, -v3
	s_delay_alu instid0(VALU_DEP_3) | instskip(NEXT) | instid1(VALU_DEP_3)
	v_mul_f16_e32 v4, v120, v8
	v_fmac_f16_e32 v0, v118, v13
	s_delay_alu instid0(VALU_DEP_3) | instskip(NEXT) | instid1(VALU_DEP_3)
	v_cvt_f32_f16_e32 v2, v2
	v_fmac_f16_e32 v4, v117, v7
	v_mul_f16_e32 v7, v120, v7
	s_delay_alu instid0(VALU_DEP_4) | instskip(NEXT) | instid1(VALU_DEP_4)
	v_cvt_f32_f16_e32 v0, v0
	v_cvt_f64_f32_e32 v[2:3], v2
	s_delay_alu instid0(VALU_DEP_4) | instskip(NEXT) | instid1(VALU_DEP_4)
	v_cvt_f32_f16_e32 v4, v4
	v_fma_f16 v7, v117, v8, -v7
	s_delay_alu instid0(VALU_DEP_4) | instskip(NEXT) | instid1(VALU_DEP_3)
	v_cvt_f64_f32_e32 v[0:1], v0
	v_cvt_f64_f32_e32 v[4:5], v4
	v_mul_f64_e32 v[2:3], s[8:9], v[2:3]
	s_delay_alu instid0(VALU_DEP_3) | instskip(NEXT) | instid1(VALU_DEP_3)
	v_mul_f64_e32 v[0:1], s[8:9], v[0:1]
	v_mul_f64_e32 v[4:5], s[8:9], v[4:5]
	s_delay_alu instid0(VALU_DEP_3)
	v_and_or_b32 v2, 0x1ff, v3, v2
	v_lshrrev_b32_e32 v11, 8, v3
	v_bfe_u32 v17, v3, 20, 11
	v_lshrrev_b32_e32 v3, 16, v3
	v_and_or_b32 v0, 0x1ff, v1, v0
	v_lshrrev_b32_e32 v9, 8, v1
	v_bfe_u32 v10, v1, 20, 11
	v_and_or_b32 v4, 0x1ff, v5, v4
	v_bfe_u32 v23, v5, 20, 11
	v_cmp_ne_u32_e32 vcc_lo, 0, v0
	s_delay_alu instid0(VALU_DEP_4) | instskip(SKIP_3) | instid1(VALU_DEP_2)
	v_add_nc_u32_e32 v22, 0xfffffc10, v10
	s_wait_alu 0xfffd
	v_cndmask_b32_e64 v0, 0, 1, vcc_lo
	v_cmp_ne_u32_e32 vcc_lo, 0, v2
	v_and_or_b32 v15, 0xffe, v9, v0
	v_sub_nc_u32_e32 v0, 0x3f1, v10
	s_wait_alu 0xfffd
	v_cndmask_b32_e64 v2, 0, 1, vcc_lo
	s_delay_alu instid0(VALU_DEP_3) | instskip(NEXT) | instid1(VALU_DEP_3)
	v_or_b32_e32 v9, 0x1000, v15
	v_med3_i32 v0, v0, 0, 13
	s_delay_alu instid0(VALU_DEP_3) | instskip(SKIP_2) | instid1(VALU_DEP_4)
	v_and_or_b32 v2, 0xffe, v11, v2
	v_sub_nc_u32_e32 v11, 0x3f1, v17
	v_add_nc_u32_e32 v17, 0xfffffc10, v17
	v_lshrrev_b32_e32 v12, v0, v9
	s_delay_alu instid0(VALU_DEP_4) | instskip(NEXT) | instid1(VALU_DEP_4)
	v_or_b32_e32 v18, 0x1000, v2
	v_med3_i32 v11, v11, 0, 13
	s_delay_alu instid0(VALU_DEP_3) | instskip(NEXT) | instid1(VALU_DEP_2)
	v_lshlrev_b32_e32 v0, v0, v12
	v_lshrrev_b32_e32 v19, v11, v18
	s_delay_alu instid0(VALU_DEP_2) | instskip(SKIP_1) | instid1(VALU_DEP_3)
	v_cmp_ne_u32_e32 vcc_lo, v0, v9
	v_cvt_f32_f16_e32 v9, v7
	v_lshlrev_b32_e32 v20, v11, v19
	v_mad_co_u64_u32 v[7:8], null, s6, v16, 0
	s_wait_alu 0xfffd
	v_cndmask_b32_e64 v0, 0, 1, vcc_lo
	v_cmp_gt_i32_e32 vcc_lo, 1, v22
	ds_load_2addr_b32 v[10:11], v83 offset0:30 offset1:35
	v_or_b32_e32 v0, v12, v0
	v_cvt_f64_f32_e32 v[12:13], v9
	v_lshl_or_b32 v9, v22, 12, v15
	s_wait_alu 0xfffd
	s_delay_alu instid0(VALU_DEP_1) | instskip(SKIP_2) | instid1(VALU_DEP_3)
	v_cndmask_b32_e32 v21, v9, v0, vcc_lo
	v_cmp_ne_u32_e32 vcc_lo, v20, v18
	v_mov_b32_e32 v0, v8
	v_and_b32_e32 v20, 7, v21
	s_wait_alu 0xfffd
	v_cndmask_b32_e64 v18, 0, 1, vcc_lo
	s_delay_alu instid0(VALU_DEP_3)
	v_mad_co_u64_u32 v[8:9], null, s7, v16, v[0:1]
	v_lshl_or_b32 v9, v17, 12, v2
	v_cmp_lt_i32_e32 vcc_lo, 5, v20
	v_cmp_eq_u32_e64 s2, 3, v20
	v_or_b32_e32 v0, v19, v18
	s_load_b64 s[6:7], s[0:1], 0x38
	v_lshrrev_b32_e32 v16, 2, v21
	v_cmp_gt_i32_e64 s0, 1, v17
	s_or_b32 vcc_lo, s2, vcc_lo
	s_wait_dscnt 0x0
	v_lshrrev_b32_e32 v18, 16, v10
	v_cmp_ne_u32_e64 s1, 0, v4
	v_lshlrev_b64_e32 v[7:8], 2, v[7:8]
	v_cndmask_b32_e64 v0, v9, v0, s0
	s_wait_alu 0xfffe
	v_add_co_ci_u32_e32 v9, vcc_lo, 0, v16, vcc_lo
	v_cmp_ne_u32_e32 vcc_lo, 0, v15
	v_mul_f16_e32 v20, v119, v18
	v_and_b32_e32 v16, 7, v0
	s_wait_alu 0xf1ff
	v_cndmask_b32_e64 v4, 0, 1, s1
	v_lshrrev_b32_e32 v0, 2, v0
	s_wait_alu 0xfffd
	v_cndmask_b32_e64 v19, 0, 1, vcc_lo
	v_cmp_gt_i32_e32 vcc_lo, 31, v22
	v_cmp_eq_u32_e64 s0, 3, v16
	v_fmac_f16_e32 v20, v115, v10
	s_mul_u64 s[2:3], s[4:5], 60
	v_lshl_or_b32 v19, v19, 9, 0x7c00
	s_wait_alu 0xfffd
	v_cndmask_b32_e32 v9, 0x7c00, v9, vcc_lo
	v_cmp_lt_i32_e32 vcc_lo, 5, v16
	v_mul_f64_e32 v[15:16], s[8:9], v[12:13]
	v_lshrrev_b32_e32 v12, 8, v5
	v_cvt_f32_f16_e32 v13, v20
	v_sub_nc_u32_e32 v20, 0x3f1, v23
	s_or_b32 vcc_lo, s0, vcc_lo
	v_lshrrev_b32_e32 v5, 16, v5
	v_and_or_b32 v4, 0xffe, v12, v4
	v_cvt_f64_f32_e32 v[12:13], v13
	s_wait_alu 0xfffe
	v_add_co_ci_u32_e32 v0, vcc_lo, 0, v0, vcc_lo
	v_cmp_ne_u32_e32 vcc_lo, 0, v2
	v_or_b32_e32 v24, 0x1000, v4
	v_med3_i32 v25, v20, 0, 13
	v_mad_co_u64_u32 v[20:21], null, s4, v111, 0
	s_wait_alu 0xfffd
	v_cndmask_b32_e64 v2, 0, 1, vcc_lo
	v_cmp_eq_u32_e32 vcc_lo, 0x40f, v22
	v_lshrrev_b32_e32 v26, v25, v24
	s_delay_alu instid0(VALU_DEP_3)
	v_lshl_or_b32 v2, v2, 9, 0x7c00
	s_wait_alu 0xfffd
	v_cndmask_b32_e32 v19, v9, v19, vcc_lo
	v_mul_f16_e32 v9, v119, v10
	v_cmp_gt_i32_e32 vcc_lo, 31, v17
	v_lshlrev_b32_e32 v22, v25, v26
	v_lshrrev_b32_e32 v25, 16, v1
	s_delay_alu instid0(VALU_DEP_4)
	v_fma_f16 v1, v115, v18, -v9
	s_wait_alu 0xfffd
	v_cndmask_b32_e32 v10, 0x7c00, v0, vcc_lo
	v_cmp_eq_u32_e32 vcc_lo, 0x40f, v17
	v_dual_mov_b32 v0, v21 :: v_dual_add_nc_u32 v17, 0xfffffc10, v23
	v_cvt_f32_f16_e32 v9, v1
	v_and_or_b32 v18, 0x8000, v25, v19
	s_wait_alu 0xfffd
	v_cndmask_b32_e32 v2, v10, v2, vcc_lo
	v_cmp_ne_u32_e32 vcc_lo, v22, v24
	v_mad_co_u64_u32 v[0:1], null, s5, v111, v[0:1]
	v_cvt_f64_f32_e32 v[9:10], v9
	v_and_or_b32 v15, 0x1ff, v16, v15
	s_wait_alu 0xfffd
	v_cndmask_b32_e64 v1, 0, 1, vcc_lo
	v_lshl_or_b32 v23, v17, 12, v4
	v_and_or_b32 v19, 0x8000, v3, v2
	ds_load_2addr_b32 v[2:3], v83 offset0:40 offset1:45
	v_cmp_ne_u32_e32 vcc_lo, 0, v15
	v_or_b32_e32 v22, v26, v1
	v_mov_b32_e32 v21, v0
	v_mul_f64_e32 v[0:1], s[8:9], v[12:13]
	v_lshrrev_b32_e32 v13, 8, v16
	s_wait_alu 0xfffd
	v_cndmask_b32_e64 v12, 0, 1, vcc_lo
	v_cmp_gt_i32_e32 vcc_lo, 1, v17
	v_bfe_u32 v15, v16, 20, 11
	v_and_b32_e32 v18, 0xffff, v18
	v_lshrrev_b32_e32 v16, 16, v16
	s_wait_alu 0xfffd
	v_cndmask_b32_e32 v22, v23, v22, vcc_lo
	v_and_or_b32 v23, 0xffe, v13, v12
	v_sub_nc_u32_e32 v12, 0x3f1, v15
	v_lshl_or_b32 v24, v19, 16, v18
	s_wait_kmcnt 0x0
	v_add_co_u32 v19, vcc_lo, s6, v7
	v_and_b32_e32 v13, 7, v22
	v_or_b32_e32 v25, 0x1000, v23
	v_med3_i32 v12, v12, 0, 13
	s_wait_alu 0xfffd
	v_add_co_ci_u32_e32 v18, vcc_lo, s7, v8, vcc_lo
	v_cmp_lt_i32_e32 vcc_lo, 5, v13
	v_cmp_eq_u32_e64 s0, 3, v13
	v_lshrrev_b32_e32 v13, 2, v22
	v_lshrrev_b32_e32 v26, v12, v25
	v_lshlrev_b64_e32 v[7:8], 2, v[20:21]
	s_wait_dscnt 0x0
	v_lshrrev_b32_e32 v20, 16, v3
	s_or_b32 vcc_lo, s0, vcc_lo
	v_add_nc_u32_e32 v15, 0xfffffc10, v15
	s_wait_alu 0xfffe
	v_add_co_ci_u32_e32 v13, vcc_lo, 0, v13, vcc_lo
	v_lshlrev_b32_e32 v12, v12, v26
	v_cmp_ne_u32_e32 vcc_lo, 0, v4
	v_mul_f64_e32 v[9:10], s[8:9], v[9:10]
	v_mul_f16_e32 v21, v116, v20
	s_mul_u64 s[6:7], s[4:5], 0x78
	s_wait_alu 0xfffd
	v_cndmask_b32_e64 v4, 0, 1, vcc_lo
	v_cmp_ne_u32_e32 vcc_lo, v12, v25
	v_fmac_f16_e32 v21, v113, v3
	v_and_or_b32 v0, 0x1ff, v1, v0
	v_mul_f16_e32 v3, v116, v3
	v_lshl_or_b32 v4, v4, 9, 0x7c00
	s_wait_alu 0xfffd
	v_cndmask_b32_e64 v12, 0, 1, vcc_lo
	v_cmp_gt_i32_e32 vcc_lo, 31, v17
	v_cvt_f32_f16_e32 v21, v21
	v_fma_f16 v3, v113, v20, -v3
	s_delay_alu instid0(VALU_DEP_4)
	v_or_b32_e32 v12, v26, v12
	s_wait_alu 0xfffd
	v_cndmask_b32_e32 v22, 0x7c00, v13, vcc_lo
	v_lshl_or_b32 v13, v15, 12, v23
	v_cmp_gt_i32_e32 vcc_lo, 1, v15
	v_bfe_u32 v26, v1, 20, 11
	v_cvt_f32_f16_e32 v3, v3
	s_wait_alu 0xfffd
	v_cndmask_b32_e32 v25, v13, v12, vcc_lo
	v_cmp_ne_u32_e32 vcc_lo, 0, v0
	v_cvt_f64_f32_e32 v[12:13], v21
	v_lshrrev_b32_e32 v21, 8, v1
	s_delay_alu instid0(VALU_DEP_4) | instskip(SKIP_3) | instid1(VALU_DEP_3)
	v_and_b32_e32 v27, 7, v25
	s_wait_alu 0xfffd
	v_cndmask_b32_e64 v0, 0, 1, vcc_lo
	v_cmp_eq_u32_e32 vcc_lo, 0x40f, v17
	v_cmp_eq_u32_e64 s0, 3, v27
	s_delay_alu instid0(VALU_DEP_3)
	v_and_or_b32 v0, 0xffe, v21, v0
	s_wait_alu 0xfffd
	v_cndmask_b32_e32 v17, v22, v4, vcc_lo
	v_cmp_lt_i32_e32 vcc_lo, 5, v27
	v_lshrrev_b32_e32 v21, 2, v25
	v_sub_nc_u32_e32 v4, 0x3f1, v26
	v_or_b32_e32 v22, 0x1000, v0
	v_and_or_b32 v9, 0x1ff, v10, v9
	s_or_b32 vcc_lo, s0, vcc_lo
	v_and_or_b32 v5, 0x8000, v5, v17
	s_wait_alu 0xfffe
	v_add_co_ci_u32_e32 v20, vcc_lo, 0, v21, vcc_lo
	v_med3_i32 v4, v4, 0, 13
	v_cmp_ne_u32_e32 vcc_lo, 0, v23
	v_bfe_u32 v28, v10, 20, 11
	v_and_b32_e32 v5, 0xffff, v5
	s_delay_alu instid0(VALU_DEP_4) | instskip(SKIP_3) | instid1(VALU_DEP_3)
	v_lshrrev_b32_e32 v25, v4, v22
	s_wait_alu 0xfffd
	v_cndmask_b32_e64 v21, 0, 1, vcc_lo
	v_cmp_gt_i32_e32 vcc_lo, 31, v15
	v_lshlrev_b32_e32 v23, v4, v25
	v_cvt_f64_f32_e32 v[3:4], v3
	s_wait_alu 0xfffd
	v_cndmask_b32_e32 v17, 0x7c00, v20, vcc_lo
	v_cmp_ne_u32_e32 vcc_lo, 0, v9
	v_lshrrev_b32_e32 v20, 8, v10
	v_lshl_or_b32 v27, v21, 9, 0x7c00
	v_lshrrev_b32_e32 v10, 16, v10
	s_wait_alu 0xfffd
	v_cndmask_b32_e64 v9, 0, 1, vcc_lo
	v_cmp_ne_u32_e32 vcc_lo, v23, v22
	v_add_nc_u32_e32 v23, 0xfffffc10, v26
	v_sub_nc_u32_e32 v26, 0x3f1, v28
	s_delay_alu instid0(VALU_DEP_4)
	v_and_or_b32 v9, 0xffe, v20, v9
	v_mul_f64_e32 v[20:21], s[8:9], v[12:13]
	ds_load_2addr_b32 v[12:13], v83 offset0:60 offset1:65
	s_wait_alu 0xfffd
	v_cndmask_b32_e64 v22, 0, 1, vcc_lo
	v_cmp_eq_u32_e32 vcc_lo, 0x40f, v15
	v_or_b32_e32 v29, 0x1000, v9
	v_med3_i32 v26, v26, 0, 13
	s_delay_alu instid0(VALU_DEP_4) | instskip(SKIP_4) | instid1(VALU_DEP_2)
	v_or_b32_e32 v22, v25, v22
	v_lshl_or_b32 v25, v23, 12, v0
	s_wait_alu 0xfffd
	v_cndmask_b32_e32 v15, v17, v27, vcc_lo
	v_cmp_gt_i32_e32 vcc_lo, 1, v23
	v_and_or_b32 v15, 0x8000, v16, v15
	s_wait_alu 0xfffd
	v_cndmask_b32_e32 v17, v25, v22, vcc_lo
	v_add_co_u32 v7, vcc_lo, v19, v7
	s_wait_alu 0xfffd
	v_add_co_ci_u32_e32 v8, vcc_lo, v18, v8, vcc_lo
	v_lshrrev_b32_e32 v22, v26, v29
	v_and_b32_e32 v16, 7, v17
	global_store_b32 v[7:8], v24, off
	s_wait_dscnt 0x0
	v_lshrrev_b32_e32 v24, 16, v12
	v_lshlrev_b32_e32 v25, v26, v22
	v_cmp_lt_i32_e32 vcc_lo, 5, v16
	v_cmp_eq_u32_e64 s0, 3, v16
	v_lshl_or_b32 v26, v15, 16, v5
	v_mul_f16_e32 v5, v114, v24
	v_lshrrev_b32_e32 v15, 2, v17
	v_mul_f64_e32 v[3:4], s[8:9], v[3:4]
	v_cmp_ne_u32_e64 s1, v25, v29
	s_or_b32 vcc_lo, s0, vcc_lo
	v_fmac_f16_e32 v5, v110, v12
	s_wait_alu 0xfffe
	v_add_co_ci_u32_e32 v25, vcc_lo, 0, v15, vcc_lo
	v_cndmask_b32_e64 v16, 0, 1, s1
	v_add_nc_u32_e32 v17, 0xfffffc10, v28
	v_cmp_ne_u32_e32 vcc_lo, 0, v0
	v_cvt_f32_f16_e32 v5, v5
	v_and_or_b32 v20, 0x1ff, v21, v20
	v_or_b32_e32 v22, v22, v16
	v_lshl_or_b32 v27, v17, 12, v9
	s_wait_alu 0xfffd
	v_cndmask_b32_e64 v0, 0, 1, vcc_lo
	v_cmp_gt_i32_e32 vcc_lo, 1, v17
	v_cvt_f64_f32_e32 v[15:16], v5
	v_mul_f16_e32 v12, v114, v12
	s_delay_alu instid0(VALU_DEP_4)
	v_lshl_or_b32 v0, v0, 9, 0x7c00
	s_wait_alu 0xfffd
	v_cndmask_b32_e32 v5, v27, v22, vcc_lo
	v_cmp_ne_u32_e32 vcc_lo, 0, v20
	v_lshrrev_b32_e32 v22, 8, v21
	v_bfe_u32 v27, v21, 20, 11
	v_fma_f16 v12, v110, v24, -v12
	v_and_b32_e32 v28, 7, v5
	s_wait_alu 0xfffd
	v_cndmask_b32_e64 v20, 0, 1, vcc_lo
	v_cmp_gt_i32_e32 vcc_lo, 31, v23
	v_cvt_f32_f16_e32 v12, v12
	v_cmp_eq_u32_e64 s0, 3, v28
	s_delay_alu instid0(VALU_DEP_4)
	v_and_or_b32 v20, 0xffe, v22, v20
	s_wait_alu 0xfffd
	v_cndmask_b32_e32 v25, 0x7c00, v25, vcc_lo
	v_cmp_eq_u32_e32 vcc_lo, 0x40f, v23
	v_sub_nc_u32_e32 v22, 0x3f1, v27
	v_cmp_ne_u32_e64 s1, 0, v20
	s_wait_alu 0xfffd
	v_cndmask_b32_e32 v25, v25, v0, vcc_lo
	v_cmp_lt_i32_e32 vcc_lo, 5, v28
	v_lshrrev_b32_e32 v28, 16, v1
	v_lshrrev_b32_e32 v1, 2, v5
	v_or_b32_e32 v0, 0x1000, v20
	v_med3_i32 v22, v22, 0, 13
	s_or_b32 vcc_lo, s0, vcc_lo
	v_and_or_b32 v3, 0x1ff, v4, v3
	s_wait_alu 0xfffe
	v_add_co_ci_u32_e32 v1, vcc_lo, 0, v1, vcc_lo
	v_cmp_ne_u32_e32 vcc_lo, 0, v9
	v_lshrrev_b32_e32 v5, v22, v0
	v_lshrrev_b32_e32 v29, 8, v4
	v_bfe_u32 v30, v4, 20, 11
	s_wait_alu 0xfffd
	v_cndmask_b32_e64 v9, 0, 1, vcc_lo
	v_cmp_ne_u32_e32 vcc_lo, 0, v3
	v_lshlrev_b32_e32 v24, v22, v5
	v_mul_f64_e32 v[15:16], s[8:9], v[15:16]
	v_cvt_f64_f32_e32 v[22:23], v12
	v_add_nc_u32_e32 v12, 0xfffffc10, v27
	s_wait_alu 0xfffd
	v_cndmask_b32_e64 v3, 0, 1, vcc_lo
	v_cmp_gt_i32_e32 vcc_lo, 31, v17
	v_lshl_or_b32 v9, v9, 9, 0x7c00
	s_delay_alu instid0(VALU_DEP_3)
	v_and_or_b32 v3, 0xffe, v29, v3
	s_wait_alu 0xfffd
	v_cndmask_b32_e32 v31, 0x7c00, v1, vcc_lo
	v_sub_nc_u32_e32 v1, 0x3f1, v30
	v_cmp_ne_u32_e32 vcc_lo, v24, v0
	v_lshl_or_b32 v29, v12, 12, v20
	v_or_b32_e32 v24, 0x1000, v3
	s_delay_alu instid0(VALU_DEP_4)
	v_med3_i32 v27, v1, 0, 13
	s_wait_alu 0xfffd
	v_cndmask_b32_e64 v0, 0, 1, vcc_lo
	v_cmp_eq_u32_e32 vcc_lo, 0x40f, v17
	v_and_or_b32 v17, 0x8000, v28, v25
	v_add_nc_u32_e32 v28, 0xfffffc10, v30
	v_lshrrev_b32_e32 v32, v27, v24
	v_or_b32_e32 v5, v5, v0
	s_wait_alu 0xfffd
	v_cndmask_b32_e32 v9, v31, v9, vcc_lo
	v_cmp_gt_i32_e32 vcc_lo, 1, v12
	ds_load_2addr_b32 v[0:1], v83 offset0:70 offset1:75
	v_lshlrev_b32_e32 v25, v27, v32
	v_and_b32_e32 v17, 0xffff, v17
	v_and_or_b32 v27, 0x8000, v10, v9
	s_wait_alu 0xfffd
	v_cndmask_b32_e32 v5, v29, v5, vcc_lo
	v_cmp_ne_u32_e32 vcc_lo, v25, v24
	v_lshl_or_b32 v25, v28, 12, v3
	v_lshl_or_b32 v17, v27, 16, v17
	s_delay_alu instid0(VALU_DEP_4)
	v_and_b32_e32 v9, 7, v5
	v_lshrrev_b32_e32 v5, 2, v5
	s_wait_alu 0xfffd
	v_cndmask_b32_e64 v10, 0, 1, vcc_lo
	v_lshrrev_b32_e32 v27, 16, v4
	v_cmp_lt_i32_e32 vcc_lo, 5, v9
	v_cmp_eq_u32_e64 s0, 3, v9
	s_delay_alu instid0(VALU_DEP_4)
	v_or_b32_e32 v24, v32, v10
	v_and_or_b32 v15, 0x1ff, v16, v15
	v_mul_f64_e32 v[9:10], s[8:9], v[22:23]
	v_bfe_u32 v32, v16, 20, 11
	s_or_b32 vcc_lo, s0, vcc_lo
	s_wait_dscnt 0x0
	v_lshrrev_b32_e32 v29, 16, v1
	s_wait_alu 0xfffe
	v_add_co_ci_u32_e32 v5, vcc_lo, 0, v5, vcc_lo
	v_cmp_gt_i32_e32 vcc_lo, 1, v28
	v_lshrrev_b32_e32 v34, 16, v16
	v_mul_f16_e32 v30, v112, v29
	s_wait_alu 0xfffd
	v_cndmask_b32_e32 v31, v25, v24, vcc_lo
	v_add_co_u32 v22, vcc_lo, v7, s2
	s_wait_alu 0xfffd
	v_add_co_ci_u32_e32 v23, vcc_lo, s3, v8, vcc_lo
	v_cmp_ne_u32_e32 vcc_lo, 0, v15
	v_fmac_f16_e32 v30, v108, v1
	v_and_b32_e32 v7, 7, v31
	v_lshrrev_b32_e32 v20, 2, v31
	v_mul_f16_e32 v1, v112, v1
	s_wait_alu 0xfffd
	v_cndmask_b32_e64 v8, 0, 1, vcc_lo
	v_cmp_gt_i32_e32 vcc_lo, 31, v12
	v_cvt_f32_f16_e32 v15, v30
	v_cmp_eq_u32_e64 s0, 3, v7
	v_lshrrev_b32_e32 v30, 8, v16
	v_fma_f16 v1, v108, v29, -v1
	s_wait_alu 0xfffd
	v_cndmask_b32_e32 v5, 0x7c00, v5, vcc_lo
	v_cmp_lt_i32_e32 vcc_lo, 5, v7
	v_cvt_f64_f32_e32 v[24:25], v15
	v_and_or_b32 v15, 0xffe, v30, v8
	v_sub_nc_u32_e32 v7, 0x3f1, v32
	v_cndmask_b32_e64 v8, 0, 1, s1
	s_or_b32 vcc_lo, s0, vcc_lo
	v_cvt_f32_f16_e32 v1, v1
	s_wait_alu 0xfffe
	v_add_co_ci_u32_e32 v20, vcc_lo, 0, v20, vcc_lo
	v_cmp_ne_u32_e32 vcc_lo, 0, v3
	v_or_b32_e32 v30, 0x1000, v15
	v_med3_i32 v7, v7, 0, 13
	v_lshl_or_b32 v8, v8, 9, 0x7c00
	v_bfe_u32 v33, v10, 20, 11
	s_wait_alu 0xfffd
	v_cndmask_b32_e64 v3, 0, 1, vcc_lo
	v_cmp_gt_i32_e32 vcc_lo, 31, v28
	v_lshrrev_b32_e32 v31, v7, v30
	v_add_nc_u32_e32 v32, 0xfffffc10, v32
	global_store_b32 v[22:23], v26, off
	v_lshl_or_b32 v3, v3, 9, 0x7c00
	s_wait_alu 0xfffd
	v_cndmask_b32_e32 v20, 0x7c00, v20, vcc_lo
	v_cmp_eq_u32_e32 vcc_lo, 0x40f, v12
	v_lshlrev_b32_e32 v7, v7, v31
	v_cmp_eq_u32_e64 s1, 0x40f, v32
	s_wait_alu 0xfffd
	v_cndmask_b32_e32 v12, v5, v8, vcc_lo
	v_cmp_eq_u32_e32 vcc_lo, 0x40f, v28
	v_and_or_b32 v5, 0x1ff, v10, v9
	v_lshrrev_b32_e32 v9, 16, v21
	s_wait_alu 0xfffd
	v_cndmask_b32_e32 v3, v20, v3, vcc_lo
	v_cmp_ne_u32_e32 vcc_lo, v7, v30
	v_lshrrev_b32_e32 v30, 8, v10
	ds_load_2addr_b32 v[7:8], v83 offset0:90 offset1:95
	v_cvt_f64_f32_e32 v[20:21], v1
	v_and_or_b32 v9, 0x8000, v9, v12
	s_wait_alu 0xfffd
	v_cndmask_b32_e64 v28, 0, 1, vcc_lo
	v_cmp_ne_u32_e32 vcc_lo, 0, v5
	v_mul_f64_e32 v[4:5], s[8:9], v[24:25]
	v_sub_nc_u32_e32 v24, 0x3f1, v33
	v_lshl_or_b32 v25, v32, 12, v15
	v_or_b32_e32 v12, v31, v28
	s_wait_alu 0xfffd
	v_cndmask_b32_e64 v29, 0, 1, vcc_lo
	v_and_or_b32 v3, 0x8000, v27, v3
	v_and_b32_e32 v9, 0xffff, v9
	v_cmp_gt_i32_e32 vcc_lo, 1, v32
	v_lshrrev_b32_e32 v10, 16, v10
	v_and_or_b32 v1, 0xffe, v30, v29
	v_med3_i32 v29, v24, 0, 13
	v_lshl_or_b32 v9, v3, 16, v9
	s_wait_alu 0xfffd
	v_cndmask_b32_e32 v12, v25, v12, vcc_lo
	v_add_co_u32 v24, vcc_lo, v22, s2
	v_or_b32_e32 v28, 0x1000, v1
	s_wait_dscnt 0x0
	v_lshrrev_b32_e32 v30, 16, v7
	s_wait_alu 0xfffd
	v_add_co_ci_u32_e32 v25, vcc_lo, s3, v23, vcc_lo
	v_and_b32_e32 v26, 7, v12
	v_lshrrev_b32_e32 v27, v29, v28
	v_add_co_u32 v22, vcc_lo, v24, s2
	s_wait_alu 0xfffd
	v_add_co_ci_u32_e32 v23, vcc_lo, s3, v25, vcc_lo
	s_delay_alu instid0(VALU_DEP_3)
	v_lshlrev_b32_e32 v3, v29, v27
	v_mul_f16_e32 v29, v109, v30
	v_cmp_lt_i32_e32 vcc_lo, 5, v26
	v_lshrrev_b32_e32 v12, 2, v12
	global_store_b32 v[24:25], v17, off
	v_cmp_ne_u32_e64 s0, v3, v28
	v_fmac_f16_e32 v29, v106, v7
	v_add_nc_u32_e32 v28, 0xfffffc10, v33
	v_mul_f16_e32 v7, v109, v7
	v_mul_f64_e32 v[20:21], s[8:9], v[20:21]
	s_wait_alu 0xf1ff
	v_cndmask_b32_e64 v3, 0, 1, s0
	v_cmp_eq_u32_e64 s0, 3, v26
	v_cvt_f32_f16_e32 v26, v29
	v_lshl_or_b32 v29, v28, 12, v1
	v_and_or_b32 v31, 0x1ff, v5, v4
	v_or_b32_e32 v27, v27, v3
	s_or_b32 vcc_lo, s0, vcc_lo
	v_cvt_f64_f32_e32 v[3:4], v26
	s_wait_alu 0xfffe
	v_add_co_ci_u32_e32 v12, vcc_lo, 0, v12, vcc_lo
	v_cmp_gt_i32_e32 vcc_lo, 1, v28
	v_fma_f16 v7, v106, v30, -v7
	global_store_b32 v[22:23], v9, off
	s_wait_alu 0xfffd
	v_cndmask_b32_e32 v26, v29, v27, vcc_lo
	v_cmp_ne_u32_e32 vcc_lo, 0, v15
	v_lshrrev_b32_e32 v29, 8, v5
	v_cvt_f32_f16_e32 v7, v7
	s_delay_alu instid0(VALU_DEP_4)
	v_and_b32_e32 v33, 7, v26
	s_wait_alu 0xfffd
	v_cndmask_b32_e64 v15, 0, 1, vcc_lo
	v_cmp_ne_u32_e32 vcc_lo, 0, v31
	v_bfe_u32 v31, v5, 20, 11
	v_lshrrev_b32_e32 v5, 16, v5
	v_cmp_eq_u32_e64 s0, 3, v33
	v_lshl_or_b32 v15, v15, 9, 0x7c00
	s_wait_alu 0xfffd
	v_cndmask_b32_e64 v27, 0, 1, vcc_lo
	v_cmp_gt_i32_e32 vcc_lo, 31, v32
	s_delay_alu instid0(VALU_DEP_2)
	v_and_or_b32 v29, 0xffe, v29, v27
	s_wait_alu 0xfffd
	v_cndmask_b32_e32 v12, 0x7c00, v12, vcc_lo
	v_sub_nc_u32_e32 v27, 0x3f1, v31
	v_cmp_lt_i32_e32 vcc_lo, 5, v33
	v_or_b32_e32 v33, 0x1000, v29
	s_delay_alu instid0(VALU_DEP_4)
	v_cndmask_b32_e64 v12, v12, v15, s1
	v_lshrrev_b32_e32 v15, 2, v26
	v_med3_i32 v27, v27, 0, 13
	s_or_b32 vcc_lo, s0, vcc_lo
	v_and_or_b32 v20, 0x1ff, v21, v20
	v_and_or_b32 v12, 0x8000, v34, v12
	s_wait_alu 0xfffe
	v_add_co_ci_u32_e32 v15, vcc_lo, 0, v15, vcc_lo
	v_lshrrev_b32_e32 v32, v27, v33
	v_cmp_ne_u32_e32 vcc_lo, 0, v1
	v_and_b32_e32 v12, 0xffff, v12
	s_delay_alu instid0(VALU_DEP_3) | instskip(SKIP_4) | instid1(VALU_DEP_3)
	v_lshlrev_b32_e32 v30, v27, v32
	s_wait_alu 0xfffd
	v_cndmask_b32_e64 v1, 0, 1, vcc_lo
	v_cmp_gt_i32_e32 vcc_lo, 31, v28
	v_cvt_f64_f32_e32 v[26:27], v7
	v_lshl_or_b32 v1, v1, 9, 0x7c00
	s_wait_alu 0xfffd
	v_cndmask_b32_e32 v35, 0x7c00, v15, vcc_lo
	v_mul_f64_e32 v[15:16], s[8:9], v[3:4]
	v_cmp_ne_u32_e32 vcc_lo, v30, v33
	v_add_nc_u32_e32 v30, 0xfffffc10, v31
	ds_load_2addr_b32 v[3:4], v83 offset0:100 offset1:105
	v_lshrrev_b32_e32 v31, 8, v21
	v_bfe_u32 v33, v21, 20, 11
	s_wait_alu 0xfffd
	v_cndmask_b32_e64 v7, 0, 1, vcc_lo
	v_cmp_ne_u32_e32 vcc_lo, 0, v20
	v_cmp_eq_u32_e64 s1, 0x40f, v30
	s_delay_alu instid0(VALU_DEP_3) | instskip(SKIP_4) | instid1(VALU_DEP_3)
	v_or_b32_e32 v7, v32, v7
	s_wait_alu 0xfffd
	v_cndmask_b32_e64 v20, 0, 1, vcc_lo
	v_cmp_eq_u32_e32 vcc_lo, 0x40f, v28
	v_lshl_or_b32 v28, v30, 12, v29
	v_and_or_b32 v20, 0xffe, v31, v20
	s_wait_alu 0xfffd
	v_cndmask_b32_e32 v1, v35, v1, vcc_lo
	v_cmp_gt_i32_e32 vcc_lo, 1, v30
	v_sub_nc_u32_e32 v31, 0x3f1, v33
	s_delay_alu instid0(VALU_DEP_3)
	v_and_or_b32 v1, 0x8000, v10, v1
	s_wait_alu 0xfffd
	v_cndmask_b32_e32 v7, v28, v7, vcc_lo
	v_or_b32_e32 v28, 0x1000, v20
	v_med3_i32 v31, v31, 0, 13
	s_wait_dscnt 0x0
	v_lshrrev_b32_e32 v32, 16, v4
	v_lshl_or_b32 v1, v1, 16, v12
	v_and_b32_e32 v10, 7, v7
	v_lshrrev_b32_e32 v7, 2, v7
	v_lshrrev_b32_e32 v17, v31, v28
	v_mul_f64_e32 v[24:25], s[8:9], v[26:27]
	s_delay_alu instid0(VALU_DEP_4) | instskip(SKIP_1) | instid1(VALU_DEP_4)
	v_cmp_lt_i32_e32 vcc_lo, 5, v10
	v_cmp_eq_u32_e64 s0, 3, v10
	v_lshlrev_b32_e32 v9, v31, v17
	v_mul_f16_e32 v10, v107, v32
	v_and_or_b32 v12, 0x1ff, v16, v15
	v_add_nc_u32_e32 v15, 0xfffffc10, v33
	s_or_b32 vcc_lo, s0, vcc_lo
	v_lshrrev_b32_e32 v26, 8, v16
	s_wait_alu 0xfffe
	v_add_co_ci_u32_e32 v7, vcc_lo, 0, v7, vcc_lo
	v_cmp_ne_u32_e32 vcc_lo, v9, v28
	v_fmac_f16_e32 v10, v104, v4
	v_lshl_or_b32 v27, v15, 12, v20
	v_bfe_u32 v28, v16, 20, 11
	v_mul_f16_e32 v4, v107, v4
	s_wait_alu 0xfffd
	v_cndmask_b32_e64 v9, 0, 1, vcc_lo
	v_cmp_ne_u32_e32 vcc_lo, 0, v12
	v_cvt_f32_f16_e32 v10, v10
	v_fma_f16 v4, v104, v32, -v4
	s_delay_alu instid0(VALU_DEP_4)
	v_or_b32_e32 v17, v17, v9
	s_wait_alu 0xfffd
	v_cndmask_b32_e64 v12, 0, 1, vcc_lo
	v_cmp_gt_i32_e32 vcc_lo, 1, v15
	v_cvt_f64_f32_e32 v[9:10], v10
	v_cvt_f32_f16_e32 v4, v4
	s_delay_alu instid0(VALU_DEP_4)
	v_and_or_b32 v12, 0xffe, v26, v12
	s_wait_alu 0xfffd
	v_cndmask_b32_e32 v17, v27, v17, vcc_lo
	v_cmp_ne_u32_e32 vcc_lo, 0, v29
	v_sub_nc_u32_e32 v26, 0x3f1, v28
	v_or_b32_e32 v29, 0x1000, v12
	s_delay_alu instid0(VALU_DEP_4)
	v_and_b32_e32 v31, 7, v17
	s_wait_alu 0xfffd
	v_cndmask_b32_e64 v27, 0, 1, vcc_lo
	v_cmp_gt_i32_e32 vcc_lo, 31, v30
	v_med3_i32 v26, v26, 0, 13
	v_lshrrev_b32_e32 v17, 2, v17
	v_cmp_eq_u32_e64 s0, 3, v31
	v_lshl_or_b32 v27, v27, 9, 0x7c00
	s_wait_alu 0xfffd
	v_cndmask_b32_e32 v7, 0x7c00, v7, vcc_lo
	v_cmp_lt_i32_e32 vcc_lo, 5, v31
	v_lshrrev_b32_e32 v32, v26, v29
	s_delay_alu instid0(VALU_DEP_3) | instskip(SKIP_1) | instid1(VALU_DEP_2)
	v_cndmask_b32_e64 v7, v7, v27, s1
	s_or_b32 vcc_lo, s0, vcc_lo
	v_lshlrev_b32_e32 v30, v26, v32
	v_cvt_f64_f32_e32 v[26:27], v4
	s_wait_alu 0xfffe
	v_add_co_ci_u32_e32 v4, vcc_lo, 0, v17, vcc_lo
	v_cmp_ne_u32_e32 vcc_lo, 0, v20
	v_and_or_b32 v17, 0x1ff, v25, v24
	v_and_or_b32 v5, 0x8000, v5, v7
	s_wait_alu 0xfffd
	v_cndmask_b32_e64 v20, 0, 1, vcc_lo
	v_cmp_ne_u32_e32 vcc_lo, v30, v29
	v_add_nc_u32_e32 v30, 0xfffffc10, v28
	s_delay_alu instid0(VALU_DEP_3)
	v_lshl_or_b32 v20, v20, 9, 0x7c00
	s_wait_alu 0xfffd
	v_cndmask_b32_e64 v24, 0, 1, vcc_lo
	v_cmp_gt_i32_e32 vcc_lo, 31, v15
	v_mul_f64_e32 v[28:29], s[8:9], v[9:10]
	v_lshrrev_b32_e32 v9, 8, v25
	v_lshl_or_b32 v31, v30, 12, v12
	v_or_b32_e32 v24, v32, v24
	s_wait_alu 0xfffd
	v_cndmask_b32_e32 v4, 0x7c00, v4, vcc_lo
	v_cmp_ne_u32_e32 vcc_lo, 0, v17
	v_bfe_u32 v32, v25, 20, 11
	v_lshrrev_b32_e32 v25, 16, v25
	s_wait_alu 0xfffd
	v_cndmask_b32_e64 v17, 0, 1, vcc_lo
	v_cmp_gt_i32_e32 vcc_lo, 1, v30
	s_delay_alu instid0(VALU_DEP_2)
	v_and_or_b32 v17, 0xffe, v9, v17
	ds_load_2addr_b32 v[9:10], v83 offset0:120 offset1:125
	s_wait_alu 0xfffd
	v_cndmask_b32_e32 v24, v31, v24, vcc_lo
	v_cmp_eq_u32_e32 vcc_lo, 0x40f, v15
	v_sub_nc_u32_e32 v31, 0x3f1, v32
	v_lshrrev_b32_e32 v15, 16, v21
	v_or_b32_e32 v34, 0x1000, v17
	v_and_b32_e32 v33, 7, v24
	s_wait_alu 0xfffd
	v_cndmask_b32_e32 v4, v4, v20, vcc_lo
	v_add_co_u32 v20, vcc_lo, v22, s2
	v_med3_i32 v31, v31, 0, 13
	s_wait_alu 0xfffd
	v_add_co_ci_u32_e32 v21, vcc_lo, s3, v23, vcc_lo
	v_cmp_lt_i32_e32 vcc_lo, 5, v33
	v_cmp_eq_u32_e64 s0, 3, v33
	v_mul_f64_e32 v[22:23], s[8:9], v[26:27]
	v_lshrrev_b32_e32 v24, 2, v24
	v_and_or_b32 v7, 0x8000, v15, v4
	v_lshrrev_b32_e32 v4, v31, v34
	s_or_b32 vcc_lo, s0, vcc_lo
	v_and_b32_e32 v15, 0xffff, v5
	s_wait_alu 0xfffe
	v_add_co_ci_u32_e32 v24, vcc_lo, 0, v24, vcc_lo
	v_lshlrev_b32_e32 v5, v31, v4
	global_store_b32 v[20:21], v1, off
	s_wait_dscnt 0x0
	v_lshrrev_b32_e32 v1, 16, v9
	v_cmp_ne_u32_e32 vcc_lo, 0, v12
	v_and_or_b32 v27, 0x1ff, v29, v28
	v_add_nc_u32_e32 v31, 0xfffffc10, v32
	v_lshrrev_b32_e32 v32, 8, v29
	v_mul_f16_e32 v26, v105, v1
	s_wait_alu 0xfffd
	v_cndmask_b32_e64 v12, 0, 1, vcc_lo
	v_cmp_ne_u32_e32 vcc_lo, v5, v34
	v_lshl_or_b32 v7, v7, 16, v15
	v_fmac_f16_e32 v26, v102, v9
	s_delay_alu instid0(VALU_DEP_4) | instskip(SKIP_4) | instid1(VALU_DEP_3)
	v_lshl_or_b32 v12, v12, 9, 0x7c00
	s_wait_alu 0xfffd
	v_cndmask_b32_e64 v5, 0, 1, vcc_lo
	v_cmp_gt_i32_e32 vcc_lo, 31, v30
	v_mul_f16_e32 v9, v105, v9
	v_or_b32_e32 v28, v4, v5
	s_wait_alu 0xfffd
	v_cndmask_b32_e32 v24, 0x7c00, v24, vcc_lo
	v_cvt_f32_f16_e32 v4, v26
	v_cmp_ne_u32_e32 vcc_lo, 0, v27
	v_lshl_or_b32 v26, v31, 12, v17
	v_fma_f16 v1, v102, v1, -v9
	s_delay_alu instid0(VALU_DEP_4)
	v_cvt_f64_f32_e32 v[4:5], v4
	s_wait_alu 0xfffd
	v_cndmask_b32_e64 v27, 0, 1, vcc_lo
	v_cmp_gt_i32_e32 vcc_lo, 1, v31
	v_cvt_f32_f16_e32 v1, v1
	v_bfe_u32 v33, v23, 20, 11
	s_delay_alu instid0(VALU_DEP_4)
	v_and_or_b32 v32, 0xffe, v32, v27
	s_wait_alu 0xfffd
	v_cndmask_b32_e32 v26, v26, v28, vcc_lo
	v_bfe_u32 v28, v29, 20, 11
	v_cmp_eq_u32_e32 vcc_lo, 0x40f, v30
	v_lshrrev_b32_e32 v30, 16, v16
	v_and_or_b32 v16, 0x1ff, v23, v22
	v_or_b32_e32 v22, 0x1000, v32
	v_sub_nc_u32_e32 v15, 0x3f1, v28
	s_wait_alu 0xfffd
	v_cndmask_b32_e32 v12, v24, v12, vcc_lo
	v_and_b32_e32 v24, 7, v26
	v_cmp_ne_u32_e64 s0, 0, v16
	v_lshrrev_b32_e32 v16, 8, v23
	v_med3_i32 v15, v15, 0, 13
	v_lshrrev_b32_e32 v26, 2, v26
	v_cmp_lt_i32_e32 vcc_lo, 5, v24
	s_wait_alu 0xf1ff
	v_cndmask_b32_e64 v9, 0, 1, s0
	v_cmp_eq_u32_e64 s0, 3, v24
	v_lshrrev_b32_e32 v24, v15, v22
	v_sub_nc_u32_e32 v27, 0x3f1, v33
	v_add_nc_u32_e32 v28, 0xfffffc10, v28
	v_and_or_b32 v9, 0xffe, v16, v9
	s_or_b32 vcc_lo, s0, vcc_lo
	v_lshlrev_b32_e32 v34, v15, v24
	v_cvt_f64_f32_e32 v[15:16], v1
	s_wait_alu 0xfffe
	v_add_co_ci_u32_e32 v36, vcc_lo, 0, v26, vcc_lo
	v_or_b32_e32 v1, 0x1000, v9
	v_cmp_ne_u32_e32 vcc_lo, v34, v22
	v_med3_i32 v35, v27, 0, 13
	v_add_nc_u32_e32 v33, 0xfffffc10, v33
	v_and_or_b32 v12, 0x8000, v30, v12
	s_wait_alu 0xfffd
	v_cndmask_b32_e64 v22, 0, 1, vcc_lo
	v_cmp_ne_u32_e32 vcc_lo, 0, v17
	v_mul_f64_e32 v[26:27], s[8:9], v[4:5]
	v_lshrrev_b32_e32 v34, v35, v1
	v_cmp_gt_i32_e64 s1, 1, v33
	v_or_b32_e32 v17, v24, v22
	s_wait_alu 0xfffd
	v_cndmask_b32_e64 v4, 0, 1, vcc_lo
	v_cmp_gt_i32_e32 vcc_lo, 31, v31
	v_lshl_or_b32 v22, v28, 12, v32
	v_lshlrev_b32_e32 v24, v35, v34
	v_and_b32_e32 v12, 0xffff, v12
	s_wait_alu 0xfffd
	v_cndmask_b32_e32 v35, 0x7c00, v36, vcc_lo
	v_cmp_gt_i32_e32 vcc_lo, 1, v28
	v_lshl_or_b32 v36, v4, 9, 0x7c00
	ds_load_2addr_b32 v[4:5], v83 offset0:130 offset1:135
	s_wait_alu 0xfffd
	v_cndmask_b32_e32 v17, v22, v17, vcc_lo
	v_add_co_u32 v20, vcc_lo, v20, s2
	s_wait_alu 0xfffd
	v_add_co_ci_u32_e32 v21, vcc_lo, s3, v21, vcc_lo
	v_cmp_eq_u32_e32 vcc_lo, 0x40f, v31
	v_and_b32_e32 v31, 7, v17
	v_lshrrev_b32_e32 v17, 2, v17
	global_store_b32 v[20:21], v7, off
	s_wait_alu 0xfffd
	v_cndmask_b32_e32 v22, v35, v36, vcc_lo
	v_cmp_ne_u32_e32 vcc_lo, v24, v1
	v_mul_f64_e32 v[15:16], s[8:9], v[15:16]
	v_lshl_or_b32 v24, v33, 12, v9
	v_cmp_eq_u32_e64 s0, 3, v31
	v_and_or_b32 v22, 0x8000, v25, v22
	s_wait_alu 0xfffd
	v_cndmask_b32_e64 v1, 0, 1, vcc_lo
	v_cmp_lt_i32_e32 vcc_lo, 5, v31
	s_wait_dscnt 0x0
	v_lshrrev_b32_e32 v30, 16, v5
	v_lshl_or_b32 v12, v22, 16, v12
	v_or_b32_e32 v1, v34, v1
	s_or_b32 vcc_lo, s0, vcc_lo
	v_and_or_b32 v25, 0x1ff, v27, v26
	s_wait_alu 0xfffe
	v_add_co_ci_u32_e32 v17, vcc_lo, 0, v17, vcc_lo
	v_cndmask_b32_e64 v1, v24, v1, s1
	v_mul_f16_e32 v24, v103, v30
	v_cmp_ne_u32_e32 vcc_lo, 0, v32
	v_lshrrev_b32_e32 v34, 8, v27
	v_bfe_u32 v35, v27, 20, 11
	v_and_b32_e32 v31, 7, v1
	v_fmac_f16_e32 v24, v100, v5
	s_wait_alu 0xfffd
	v_cndmask_b32_e64 v26, 0, 1, vcc_lo
	v_cmp_ne_u32_e32 vcc_lo, 0, v25
	v_lshrrev_b32_e32 v1, 2, v1
	v_cmp_eq_u32_e64 s0, 3, v31
	v_cvt_f32_f16_e32 v22, v24
	v_mul_f16_e32 v5, v103, v5
	s_wait_alu 0xfffd
	v_cndmask_b32_e64 v32, 0, 1, vcc_lo
	v_cmp_gt_i32_e32 vcc_lo, 31, v28
	v_lshl_or_b32 v26, v26, 9, 0x7c00
	v_cvt_f64_f32_e32 v[24:25], v22
	v_sub_nc_u32_e32 v22, 0x3f1, v35
	v_and_or_b32 v32, 0xffe, v34, v32
	s_wait_alu 0xfffd
	v_cndmask_b32_e32 v17, 0x7c00, v17, vcc_lo
	v_cmp_lt_i32_e32 vcc_lo, 5, v31
	v_fma_f16 v5, v100, v30, -v5
	v_med3_i32 v22, v22, 0, 13
	v_or_b32_e32 v31, 0x1000, v32
	v_and_or_b32 v15, 0x1ff, v16, v15
	s_or_b32 vcc_lo, s0, vcc_lo
	v_lshrrev_b32_e32 v36, 8, v16
	s_wait_alu 0xfffe
	v_add_co_ci_u32_e32 v1, vcc_lo, 0, v1, vcc_lo
	v_cmp_ne_u32_e32 vcc_lo, 0, v9
	v_lshrrev_b32_e32 v34, v22, v31
	v_bfe_u32 v37, v16, 20, 11
	v_cvt_f32_f16_e32 v5, v5
	v_add_nc_u32_e32 v35, 0xfffffc10, v35
	s_wait_alu 0xfffd
	v_cndmask_b32_e64 v9, 0, 1, vcc_lo
	v_cmp_gt_i32_e32 vcc_lo, 31, v33
	v_lshlrev_b32_e32 v22, v22, v34
	s_delay_alu instid0(VALU_DEP_3)
	v_lshl_or_b32 v9, v9, 9, 0x7c00
	s_wait_alu 0xfffd
	v_cndmask_b32_e32 v1, 0x7c00, v1, vcc_lo
	v_cmp_ne_u32_e32 vcc_lo, 0, v15
	s_wait_alu 0xfffd
	v_cndmask_b32_e64 v15, 0, 1, vcc_lo
	v_cmp_eq_u32_e32 vcc_lo, 0x40f, v28
	v_sub_nc_u32_e32 v28, 0x3f1, v37
	s_delay_alu instid0(VALU_DEP_3)
	v_and_or_b32 v15, 0xffe, v36, v15
	s_wait_alu 0xfffd
	v_cndmask_b32_e32 v17, v17, v26, vcc_lo
	v_cmp_ne_u32_e32 vcc_lo, v22, v31
	v_med3_i32 v31, v28, 0, 13
	v_mul_f64_e32 v[24:25], s[8:9], v[24:25]
	v_or_b32_e32 v30, 0x1000, v15
	v_lshrrev_b32_e32 v26, 16, v29
	s_wait_alu 0xfffd
	v_cndmask_b32_e64 v22, 0, 1, vcc_lo
	v_cvt_f64_f32_e32 v[28:29], v5
	v_cmp_gt_i32_e32 vcc_lo, 1, v35
	v_lshrrev_b32_e32 v5, v31, v30
	v_and_or_b32 v17, 0x8000, v26, v17
	v_or_b32_e32 v22, v34, v22
	v_lshl_or_b32 v34, v35, 12, v32
	s_delay_alu instid0(VALU_DEP_4) | instskip(SKIP_1) | instid1(VALU_DEP_2)
	v_lshlrev_b32_e32 v26, v31, v5
	s_wait_alu 0xfffd
	v_cndmask_b32_e32 v34, v34, v22, vcc_lo
	v_cmp_eq_u32_e32 vcc_lo, 0x40f, v33
	s_delay_alu instid0(VALU_DEP_3) | instskip(SKIP_1) | instid1(VALU_DEP_4)
	v_cmp_ne_u32_e64 s0, v26, v30
	v_lshrrev_b32_e32 v26, 16, v14
	v_and_b32_e32 v31, 7, v34
	s_wait_alu 0xfffd
	v_cndmask_b32_e32 v1, v1, v9, vcc_lo
	v_add_co_u32 v22, vcc_lo, v20, s2
	v_lshrrev_b32_e32 v9, 16, v23
	s_wait_alu 0xfffd
	v_add_co_ci_u32_e32 v23, vcc_lo, s3, v21, vcc_lo
	v_cmp_lt_i32_e32 vcc_lo, 5, v31
	s_wait_alu 0xf1ff
	v_cndmask_b32_e64 v7, 0, 1, s0
	v_cmp_eq_u32_e64 s0, 3, v31
	global_store_b32 v[22:23], v12, off
	v_lshrrev_b32_e32 v12, 2, v34
	v_and_or_b32 v1, 0x8000, v9, v1
	v_and_b32_e32 v9, 0xffff, v17
	v_add_nc_u32_e32 v17, 0xfffffc10, v37
	s_or_b32 vcc_lo, s0, vcc_lo
	v_or_b32_e32 v5, v5, v7
	s_wait_alu 0xfffe
	v_add_co_ci_u32_e32 v12, vcc_lo, 0, v12, vcc_lo
	v_lshl_or_b32 v7, v17, 12, v15
	v_cmp_gt_i32_e32 vcc_lo, 1, v17
	v_and_or_b32 v24, 0x1ff, v25, v24
	v_lshl_or_b32 v9, v1, 16, v9
	v_mul_f64_e32 v[20:21], s[8:9], v[28:29]
	v_bfe_u32 v33, v25, 20, 11
	s_wait_alu 0xfffd
	v_cndmask_b32_e32 v5, v7, v5, vcc_lo
	v_mul_f16_e32 v7, v101, v26
	v_cmp_ne_u32_e32 vcc_lo, 0, v32
	v_cmp_ne_u32_e64 s0, 0, v24
	s_delay_alu instid0(VALU_DEP_4) | instskip(NEXT) | instid1(VALU_DEP_4)
	v_and_b32_e32 v1, 7, v5
	v_fmac_f16_e32 v7, v98, v14
	s_wait_alu 0xfffd
	v_cndmask_b32_e64 v30, 0, 1, vcc_lo
	v_cmp_gt_i32_e32 vcc_lo, 31, v35
	s_wait_alu 0xf1ff
	v_cndmask_b32_e64 v24, 0, 1, s0
	v_cmp_eq_u32_e64 s0, 3, v1
	v_cvt_f32_f16_e32 v7, v7
	v_mul_f16_e32 v14, v101, v14
	s_wait_alu 0xfffd
	v_cndmask_b32_e32 v12, 0x7c00, v12, vcc_lo
	v_cmp_lt_i32_e32 vcc_lo, 5, v1
	v_lshrrev_b32_e32 v1, 2, v5
	v_cvt_f64_f32_e32 v[28:29], v7
	v_lshl_or_b32 v32, v30, 9, 0x7c00
	v_lshrrev_b32_e32 v30, 8, v25
	s_or_b32 vcc_lo, s0, vcc_lo
	v_fma_f16 v26, v98, v26, -v14
	s_wait_alu 0xfffe
	v_add_co_ci_u32_e32 v1, vcc_lo, 0, v1, vcc_lo
	v_cmp_ne_u32_e32 vcc_lo, 0, v15
	v_and_or_b32 v5, 0xffe, v30, v24
	v_sub_nc_u32_e32 v7, 0x3f1, v33
	v_cvt_f32_f16_e32 v26, v26
	v_mad_co_u64_u32 v[14:15], null, s4, v95, 0
	s_wait_alu 0xfffd
	v_cndmask_b32_e64 v30, 0, 1, vcc_lo
	v_or_b32_e32 v24, 0x1000, v5
	v_med3_i32 v7, v7, 0, 13
	v_cmp_gt_i32_e32 vcc_lo, 31, v17
	v_lshrrev_b32_e32 v25, 16, v25
	v_lshl_or_b32 v37, v30, 9, 0x7c00
	v_cvt_f64_f32_e32 v[30:31], v26
	v_lshrrev_b32_e32 v34, v7, v24
	s_wait_alu 0xfffd
	v_cndmask_b32_e32 v36, 0x7c00, v1, vcc_lo
	v_cmp_eq_u32_e32 vcc_lo, 0x40f, v35
	v_and_or_b32 v20, 0x1ff, v21, v20
	v_mov_b32_e32 v1, v15
	v_lshlrev_b32_e32 v7, v7, v34
	v_lshrrev_b32_e32 v26, 16, v27
	s_wait_alu 0xfffd
	v_cndmask_b32_e32 v12, v12, v32, vcc_lo
	v_cmp_eq_u32_e32 vcc_lo, 0x40f, v17
	v_lshrrev_b32_e32 v27, 16, v16
	v_mad_co_u64_u32 v[15:16], null, s5, v95, v[1:2]
	s_delay_alu instid0(VALU_DEP_4)
	v_and_or_b32 v1, 0x8000, v26, v12
	s_wait_alu 0xfffd
	v_cndmask_b32_e32 v17, v36, v37, vcc_lo
	v_cmp_ne_u32_e32 vcc_lo, v7, v24
	v_lshrrev_b32_e32 v26, 8, v21
	v_bfe_u32 v32, v21, 20, 11
	v_add_nc_u32_e32 v12, 0xfffffc10, v33
	v_and_or_b32 v24, 0x8000, v27, v17
	s_wait_alu 0xfffd
	v_cndmask_b32_e64 v7, 0, 1, vcc_lo
	v_cmp_ne_u32_e32 vcc_lo, 0, v20
	v_mul_f64_e32 v[16:17], s[8:9], v[28:29]
	v_sub_nc_u32_e32 v28, 0x3f1, v32
	v_lshl_or_b32 v27, v12, 12, v5
	v_or_b32_e32 v7, v34, v7
	s_wait_alu 0xfffd
	v_cndmask_b32_e64 v20, 0, 1, vcc_lo
	v_cmp_gt_i32_e32 vcc_lo, 1, v12
	v_and_b32_e32 v1, 0xffff, v1
	v_med3_i32 v34, v28, 0, 13
	v_add_nc_u32_e32 v32, 0xfffffc10, v32
	v_and_or_b32 v20, 0xffe, v26, v20
	s_wait_alu 0xfffd
	v_cndmask_b32_e32 v7, v27, v7, vcc_lo
	v_lshlrev_b64_e32 v[26:27], 2, v[14:15]
	ds_load_2addr_b32 v[14:15], v83 offset0:20 offset1:25
	v_lshl_or_b32 v1, v24, 16, v1
	v_or_b32_e32 v33, 0x1000, v20
	v_add_co_u32 v22, vcc_lo, v22, s2
	v_and_b32_e32 v35, 7, v7
	v_mul_f64_e32 v[28:29], s[8:9], v[30:31]
	s_delay_alu instid0(VALU_DEP_4) | instskip(SKIP_3) | instid1(VALU_DEP_3)
	v_lshrrev_b32_e32 v24, v34, v33
	s_wait_alu 0xfffd
	v_add_co_ci_u32_e32 v23, vcc_lo, s3, v23, vcc_lo
	v_add_co_u32 v26, vcc_lo, v19, v26
	v_lshlrev_b32_e32 v30, v34, v24
	s_wait_alu 0xfffd
	v_add_co_ci_u32_e32 v27, vcc_lo, v18, v27, vcc_lo
	v_cmp_lt_i32_e32 vcc_lo, 5, v35
	v_cmp_eq_u32_e64 s0, 3, v35
	v_lshrrev_b32_e32 v7, 2, v7
	v_cmp_ne_u32_e64 s1, v30, v33
	global_store_b32 v[22:23], v9, off
	global_store_b32 v[26:27], v1, off
	s_wait_dscnt 0x0
	v_lshrrev_b32_e32 v1, 16, v14
	s_or_b32 vcc_lo, s0, vcc_lo
	s_wait_alu 0xfffe
	v_add_co_ci_u32_e32 v7, vcc_lo, 0, v7, vcc_lo
	v_cndmask_b32_e64 v9, 0, 1, s1
	v_cmp_ne_u32_e32 vcc_lo, 0, v5
	v_and_or_b32 v16, 0x1ff, v17, v16
	v_mul_f16_e32 v26, v99, v1
	v_bfe_u32 v33, v17, 20, 11
	v_or_b32_e32 v9, v24, v9
	v_lshl_or_b32 v24, v32, 12, v20
	s_wait_alu 0xfffd
	v_cndmask_b32_e64 v5, 0, 1, vcc_lo
	v_cmp_gt_i32_e32 vcc_lo, 1, v32
	v_fmac_f16_e32 v26, v96, v14
	v_mul_f16_e32 v14, v99, v14
	s_delay_alu instid0(VALU_DEP_4)
	v_lshl_or_b32 v5, v5, 9, 0x7c00
	s_wait_alu 0xfffd
	v_cndmask_b32_e32 v9, v24, v9, vcc_lo
	v_cmp_ne_u32_e32 vcc_lo, 0, v16
	v_lshrrev_b32_e32 v24, 8, v17
	v_cvt_f32_f16_e32 v26, v26
	v_fma_f16 v1, v96, v1, -v14
	v_and_b32_e32 v30, 7, v9
	s_wait_alu 0xfffd
	v_cndmask_b32_e64 v16, 0, 1, vcc_lo
	v_cmp_gt_i32_e32 vcc_lo, 31, v12
	v_cvt_f64_f32_e32 v[26:27], v26
	v_and_or_b32 v28, 0x1ff, v29, v28
	v_bfe_u32 v34, v29, 20, 11
	v_and_or_b32 v16, 0xffe, v24, v16
	s_wait_alu 0xfffd
	v_cndmask_b32_e32 v7, 0x7c00, v7, vcc_lo
	v_sub_nc_u32_e32 v24, 0x3f1, v33
	v_cmp_eq_u32_e32 vcc_lo, 0x40f, v12
	v_cmp_ne_u32_e64 s0, 0, v28
	v_lshrrev_b32_e32 v28, 8, v29
	v_lshrrev_b32_e32 v9, 2, v9
	v_med3_i32 v12, v24, 0, 13
	s_wait_alu 0xfffd
	v_cndmask_b32_e32 v5, v7, v5, vcc_lo
	v_or_b32_e32 v7, 0x1000, v16
	s_wait_alu 0xf1ff
	v_cndmask_b32_e64 v24, 0, 1, s0
	v_cmp_lt_i32_e32 vcc_lo, 5, v30
	v_cmp_eq_u32_e64 s0, 3, v30
	v_cvt_f32_f16_e32 v1, v1
	v_lshrrev_b32_e32 v14, v12, v7
	v_and_or_b32 v28, 0xffe, v28, v24
	v_sub_nc_u32_e32 v24, 0x3f1, v34
	s_or_b32 vcc_lo, s0, vcc_lo
	v_cvt_f64_f32_e32 v[30:31], v1
	v_lshlrev_b32_e32 v12, v12, v14
	s_wait_alu 0xfffe
	v_add_co_ci_u32_e32 v9, vcc_lo, 0, v9, vcc_lo
	v_or_b32_e32 v35, 0x1000, v28
	v_med3_i32 v24, v24, 0, 13
	v_cmp_ne_u32_e64 s1, v12, v7
	v_add_nc_u32_e32 v7, 0xfffffc10, v33
	v_cmp_ne_u32_e32 vcc_lo, 0, v20
	v_add_nc_u32_e32 v33, 0xfffffc10, v34
	v_lshrrev_b32_e32 v12, v24, v35
	s_wait_alu 0xf1ff
	v_cndmask_b32_e64 v1, 0, 1, s1
	v_and_or_b32 v5, 0x8000, v25, v5
	s_wait_alu 0xfffd
	v_cndmask_b32_e64 v20, 0, 1, vcc_lo
	v_cmp_gt_i32_e32 vcc_lo, 1, v7
	v_lshlrev_b32_e32 v24, v24, v12
	v_or_b32_e32 v1, v14, v1
	v_lshl_or_b32 v14, v7, 12, v16
	v_mul_f64_e32 v[26:27], s[8:9], v[26:27]
	v_cmp_gt_i32_e64 s1, 1, v33
	v_and_b32_e32 v5, 0xffff, v5
	s_wait_alu 0xfffd
	v_cndmask_b32_e32 v1, v14, v1, vcc_lo
	v_cmp_gt_i32_e32 vcc_lo, 31, v32
	v_lshl_or_b32 v14, v20, 9, 0x7c00
	s_delay_alu instid0(VALU_DEP_3)
	v_and_b32_e32 v20, 7, v1
	s_wait_alu 0xfffd
	v_cndmask_b32_e32 v9, 0x7c00, v9, vcc_lo
	v_cmp_ne_u32_e32 vcc_lo, v24, v35
	v_lshrrev_b32_e32 v1, 2, v1
	v_cmp_eq_u32_e64 s0, 3, v20
	s_wait_alu 0xfffd
	v_cndmask_b32_e64 v24, 0, 1, vcc_lo
	v_cmp_eq_u32_e32 vcc_lo, 0x40f, v32
	s_delay_alu instid0(VALU_DEP_2)
	v_or_b32_e32 v12, v12, v24
	s_wait_alu 0xfffd
	v_cndmask_b32_e32 v9, v9, v14, vcc_lo
	v_lshrrev_b32_e32 v14, 16, v21
	v_cmp_lt_i32_e32 vcc_lo, 5, v20
	v_lshl_or_b32 v21, v33, 12, v28
	s_delay_alu instid0(VALU_DEP_3) | instskip(SKIP_2) | instid1(VALU_DEP_3)
	v_and_or_b32 v9, 0x8000, v14, v9
	v_lshrrev_b32_e32 v14, 16, v11
	s_or_b32 vcc_lo, s0, vcc_lo
	v_cndmask_b32_e64 v12, v21, v12, s1
	s_wait_alu 0xfffe
	v_add_co_ci_u32_e32 v1, vcc_lo, 0, v1, vcc_lo
	v_mul_f16_e32 v24, v97, v14
	v_mul_f64_e32 v[20:21], s[8:9], v[30:31]
	v_cmp_ne_u32_e32 vcc_lo, 0, v16
	v_and_b32_e32 v25, 7, v12
	v_and_or_b32 v26, 0x1ff, v27, v26
	v_fmac_f16_e32 v24, v93, v11
	v_lshrrev_b32_e32 v12, 2, v12
	s_wait_alu 0xfffd
	v_cndmask_b32_e64 v16, 0, 1, vcc_lo
	v_cmp_gt_i32_e32 vcc_lo, 31, v7
	v_cmp_eq_u32_e64 s0, 3, v25
	v_cvt_f32_f16_e32 v24, v24
	v_cmp_ne_u32_e64 s1, 0, v26
	v_lshrrev_b32_e32 v30, 8, v27
	s_wait_alu 0xfffd
	v_cndmask_b32_e32 v1, 0x7c00, v1, vcc_lo
	v_cmp_lt_i32_e32 vcc_lo, 5, v25
	v_cvt_f64_f32_e32 v[24:25], v24
	s_wait_alu 0xf1ff
	v_cndmask_b32_e64 v26, 0, 1, s1
	v_bfe_u32 v31, v27, 20, 11
	v_lshl_or_b32 v16, v16, 9, 0x7c00
	s_or_b32 vcc_lo, s0, vcc_lo
	v_mul_f16_e32 v11, v97, v11
	s_wait_alu 0xfffe
	v_add_co_ci_u32_e32 v12, vcc_lo, 0, v12, vcc_lo
	v_cmp_ne_u32_e32 vcc_lo, 0, v28
	v_and_or_b32 v26, 0xffe, v30, v26
	v_sub_nc_u32_e32 v30, 0x3f1, v31
	v_fma_f16 v11, v93, v14, -v11
	v_add_nc_u32_e32 v35, 0xfffffc10, v31
	s_wait_alu 0xfffd
	v_cndmask_b32_e64 v28, 0, 1, vcc_lo
	v_cmp_eq_u32_e32 vcc_lo, 0x40f, v7
	v_or_b32_e32 v7, 0x1000, v26
	v_lshl_or_b32 v5, v9, 16, v5
	s_delay_alu instid0(VALU_DEP_4)
	v_lshl_or_b32 v28, v28, 9, 0x7c00
	s_wait_alu 0xfffd
	v_cndmask_b32_e32 v1, v1, v16, vcc_lo
	v_med3_i32 v16, v30, 0, 13
	v_cmp_gt_i32_e32 vcc_lo, 31, v33
	v_lshrrev_b32_e32 v30, 16, v17
	v_and_or_b32 v17, 0x1ff, v21, v20
	s_delay_alu instid0(VALU_DEP_4)
	v_lshrrev_b32_e32 v32, v16, v7
	s_wait_alu 0xfffd
	v_cndmask_b32_e32 v12, 0x7c00, v12, vcc_lo
	v_cmp_eq_u32_e32 vcc_lo, 0x40f, v33
	v_lshrrev_b32_e32 v20, 16, v29
	v_lshrrev_b32_e32 v33, 8, v21
	v_bfe_u32 v34, v21, 20, 11
	v_and_or_b32 v1, 0x8000, v30, v1
	s_wait_alu 0xfffd
	v_cndmask_b32_e32 v14, v12, v28, vcc_lo
	v_lshlrev_b32_e32 v28, v16, v32
	v_cmp_ne_u32_e32 vcc_lo, 0, v17
	v_cvt_f32_f16_e32 v16, v11
	ds_load_2addr_b32 v[11:12], v83 offset0:50 offset1:55
	v_and_or_b32 v14, 0x8000, v20, v14
	v_mul_f64_e32 v[24:25], s[8:9], v[24:25]
	s_wait_alu 0xfffd
	v_cndmask_b32_e64 v29, 0, 1, vcc_lo
	v_cmp_ne_u32_e32 vcc_lo, v28, v7
	v_cvt_f64_f32_e32 v[16:17], v16
	v_sub_nc_u32_e32 v28, 0x3f1, v34
	v_and_b32_e32 v1, 0xffff, v1
	v_and_or_b32 v33, 0xffe, v33, v29
	s_wait_alu 0xfffd
	v_cndmask_b32_e64 v7, 0, 1, vcc_lo
	v_add_co_u32 v22, vcc_lo, v22, s6
	s_wait_alu 0xfffd
	v_add_co_ci_u32_e32 v23, vcc_lo, s7, v23, vcc_lo
	s_delay_alu instid0(VALU_DEP_3)
	v_or_b32_e32 v7, v32, v7
	v_lshl_or_b32 v29, v35, 12, v26
	v_cmp_gt_i32_e32 vcc_lo, 1, v35
	v_or_b32_e32 v30, 0x1000, v33
	v_med3_i32 v31, v28, 0, 13
	v_lshl_or_b32 v1, v14, 16, v1
	s_wait_dscnt 0x0
	v_lshrrev_b32_e32 v32, 16, v11
	s_wait_alu 0xfffd
	v_dual_cndmask_b32 v7, v29, v7 :: v_dual_add_nc_u32 v14, 0xfffffc10, v34
	v_lshrrev_b32_e32 v20, v31, v30
	v_mad_co_u64_u32 v[28:29], null, 0xfffffdf8, s4, v[22:23]
	s_delay_alu instid0(VALU_DEP_3) | instskip(SKIP_1) | instid1(VALU_DEP_4)
	v_and_b32_e32 v36, 7, v7
	v_mul_f16_e32 v37, v94, v32
	v_lshlrev_b32_e32 v31, v31, v20
	v_lshrrev_b32_e32 v7, 2, v7
	v_lshrrev_b32_e32 v21, 16, v21
	v_cmp_lt_i32_e32 vcc_lo, 5, v36
	v_cmp_eq_u32_e64 s0, 3, v36
	v_fmac_f16_e32 v37, v91, v11
	v_cmp_ne_u32_e64 s1, v31, v30
	v_mul_f16_e32 v11, v94, v11
	s_delay_alu instid0(VALU_DEP_4) | instskip(NEXT) | instid1(VALU_DEP_3)
	s_or_b32 vcc_lo, s0, vcc_lo
	v_cvt_f32_f16_e32 v30, v37
	s_wait_alu 0xfffe
	v_add_co_ci_u32_e32 v7, vcc_lo, 0, v7, vcc_lo
	v_cndmask_b32_e64 v9, 0, 1, s1
	v_cmp_ne_u32_e32 vcc_lo, 0, v26
	v_cvt_f64_f32_e32 v[30:31], v30
	v_mul_f64_e32 v[16:17], s[8:9], v[16:17]
	v_bfe_u32 v34, v25, 20, 11
	v_or_b32_e32 v9, v20, v9
	v_and_or_b32 v20, 0x1ff, v25, v24
	v_lshl_or_b32 v24, v14, 12, v33
	s_wait_alu 0xfffd
	v_cndmask_b32_e64 v26, 0, 1, vcc_lo
	v_cmp_gt_i32_e32 vcc_lo, 1, v14
	s_mul_i32 s0, s5, 0xfffffdf8
	v_fma_f16 v11, v91, v32, -v11
	s_wait_alu 0xfffe
	s_sub_co_i32 s10, s0, s4
	v_lshl_or_b32 v26, v26, 9, 0x7c00
	s_wait_alu 0xfffd
	v_cndmask_b32_e32 v9, v24, v9, vcc_lo
	v_cmp_gt_i32_e32 vcc_lo, 31, v35
	v_lshrrev_b32_e32 v24, 8, v25
	v_cvt_f32_f16_e32 v11, v11
	v_lshrrev_b32_e32 v32, 16, v27
	s_wait_alu 0xfffd
	v_dual_cndmask_b32 v7, 0x7c00, v7 :: v_dual_and_b32 v36, 7, v9
	v_cmp_ne_u32_e32 vcc_lo, 0, v20
	v_lshrrev_b32_e32 v9, 2, v9
	v_add_nc_u32_e32 v29, s10, v29
	s_delay_alu instid0(VALU_DEP_4)
	v_cmp_eq_u32_e64 s0, 3, v36
	global_store_b32 v[22:23], v5, off
	global_store_b32 v[28:29], v1, off
	s_wait_alu 0xfffd
	v_cndmask_b32_e64 v20, 0, 1, vcc_lo
	v_cmp_eq_u32_e32 vcc_lo, 0x40f, v35
	v_lshrrev_b32_e32 v25, 16, v25
	s_delay_alu instid0(VALU_DEP_3)
	v_and_or_b32 v24, 0xffe, v24, v20
	v_sub_nc_u32_e32 v20, 0x3f1, v34
	s_wait_alu 0xfffd
	v_cndmask_b32_e32 v7, v7, v26, vcc_lo
	v_cmp_lt_i32_e32 vcc_lo, 5, v36
	v_cvt_f64_f32_e32 v[26:27], v11
	v_or_b32_e32 v35, 0x1000, v24
	v_med3_i32 v20, v20, 0, 13
	v_mul_f64_e32 v[30:31], s[8:9], v[30:31]
	s_or_b32 vcc_lo, s0, vcc_lo
	v_and_or_b32 v16, 0x1ff, v17, v16
	s_wait_alu 0xfffe
	v_add_co_ci_u32_e32 v9, vcc_lo, 0, v9, vcc_lo
	v_lshrrev_b32_e32 v36, v20, v35
	v_cmp_ne_u32_e32 vcc_lo, 0, v33
	v_lshrrev_b32_e32 v33, 8, v17
	v_add_nc_u32_e32 v34, 0xfffffc10, v34
	v_and_or_b32 v7, 0x8000, v32, v7
	v_lshlrev_b32_e32 v20, v20, v36
	s_wait_alu 0xfffd
	v_cndmask_b32_e64 v11, 0, 1, vcc_lo
	v_cmp_gt_i32_e32 vcc_lo, 31, v14
	v_and_b32_e32 v7, 0xffff, v7
	s_delay_alu instid0(VALU_DEP_3)
	v_lshl_or_b32 v11, v11, 9, 0x7c00
	s_wait_alu 0xfffd
	v_cndmask_b32_e32 v9, 0x7c00, v9, vcc_lo
	v_cmp_ne_u32_e32 vcc_lo, v20, v35
	v_bfe_u32 v35, v17, 20, 11
	s_wait_alu 0xfffd
	v_cndmask_b32_e64 v20, 0, 1, vcc_lo
	v_cmp_ne_u32_e32 vcc_lo, 0, v16
	s_wait_alu 0xfffd
	v_cndmask_b32_e64 v16, 0, 1, vcc_lo
	v_cmp_eq_u32_e32 vcc_lo, 0x40f, v14
	v_sub_nc_u32_e32 v14, 0x3f1, v35
	s_wait_alu 0xfffd
	v_cndmask_b32_e32 v9, v9, v11, vcc_lo
	v_and_or_b32 v11, 0xffe, v33, v16
	s_delay_alu instid0(VALU_DEP_3)
	v_med3_i32 v14, v14, 0, 13
	v_or_b32_e32 v16, v36, v20
	v_lshl_or_b32 v20, v34, 12, v24
	v_cmp_gt_i32_e32 vcc_lo, 1, v34
	v_or_b32_e32 v33, 0x1000, v11
	v_and_or_b32 v9, 0x8000, v21, v9
	s_wait_alu 0xfffd
	v_cndmask_b32_e32 v16, v20, v16, vcc_lo
	s_delay_alu instid0(VALU_DEP_3) | instskip(NEXT) | instid1(VALU_DEP_3)
	v_lshrrev_b32_e32 v32, v14, v33
	v_lshl_or_b32 v5, v9, 16, v7
	v_lshrrev_b32_e32 v7, 16, v13
	v_add_nc_u32_e32 v9, 0xfffffc10, v35
	v_and_b32_e32 v20, 7, v16
	v_lshlrev_b32_e32 v1, v14, v32
	v_and_or_b32 v14, 0x1ff, v31, v30
	v_mul_f16_e32 v22, v92, v7
	v_bfe_u32 v30, v31, 20, 11
	v_cmp_lt_i32_e32 vcc_lo, 5, v20
	v_cmp_ne_u32_e64 s1, v1, v33
	v_cmp_eq_u32_e64 s0, 3, v20
	v_mul_f64_e32 v[20:21], s[8:9], v[26:27]
	v_lshrrev_b32_e32 v26, 8, v31
	v_fmac_f16_e32 v22, v89, v13
	s_wait_alu 0xf1ff
	v_cndmask_b32_e64 v1, 0, 1, s1
	v_cmp_ne_u32_e64 s1, 0, v14
	v_lshrrev_b32_e32 v16, 2, v16
	v_lshl_or_b32 v23, v9, 12, v11
	s_or_b32 vcc_lo, s0, vcc_lo
	v_or_b32_e32 v1, v32, v1
	v_cndmask_b32_e64 v14, 0, 1, s1
	v_cmp_gt_i32_e64 s1, 1, v9
	s_wait_alu 0xfffe
	v_add_co_ci_u32_e32 v16, vcc_lo, 0, v16, vcc_lo
	v_mul_f16_e32 v13, v92, v13
	v_and_or_b32 v32, 0xffe, v26, v14
	v_cvt_f32_f16_e32 v14, v22
	v_sub_nc_u32_e32 v26, 0x3f1, v30
	s_wait_alu 0xf1ff
	v_cndmask_b32_e64 v1, v23, v1, s1
	v_fma_f16 v7, v89, v7, -v13
	v_or_b32_e32 v35, 0x1000, v32
	v_cvt_f64_f32_e32 v[22:23], v14
	v_med3_i32 v14, v26, 0, 13
	v_add_co_u32 v26, vcc_lo, v28, s2
	s_wait_alu 0xfffd
	v_add_co_ci_u32_e32 v27, vcc_lo, s3, v29, vcc_lo
	v_cmp_ne_u32_e32 vcc_lo, 0, v24
	v_and_b32_e32 v33, 7, v1
	v_lshrrev_b32_e32 v28, v14, v35
	v_lshrrev_b32_e32 v1, 2, v1
	v_cvt_f32_f16_e32 v7, v7
	s_wait_alu 0xfffd
	v_cndmask_b32_e64 v24, 0, 1, vcc_lo
	v_cmp_gt_i32_e32 vcc_lo, 31, v34
	v_cmp_eq_u32_e64 s0, 3, v33
	v_lshlrev_b32_e32 v14, v14, v28
	v_add_nc_u32_e32 v30, 0xfffffc10, v30
	v_lshl_or_b32 v24, v24, 9, 0x7c00
	s_wait_alu 0xfffd
	v_cndmask_b32_e32 v16, 0x7c00, v16, vcc_lo
	v_cmp_lt_i32_e32 vcc_lo, 5, v33
	v_and_or_b32 v20, 0x1ff, v21, v20
	v_bfe_u32 v33, v21, 20, 11
	global_store_b32 v[26:27], v5, off
	s_or_b32 vcc_lo, s0, vcc_lo
	s_wait_alu 0xfffe
	v_add_co_ci_u32_e32 v1, vcc_lo, 0, v1, vcc_lo
	v_cmp_ne_u32_e32 vcc_lo, v14, v35
	s_wait_alu 0xfffd
	v_cndmask_b32_e64 v13, 0, 1, vcc_lo
	v_cmp_ne_u32_e32 vcc_lo, 0, v20
	v_lshrrev_b32_e32 v20, 8, v21
	s_delay_alu instid0(VALU_DEP_3)
	v_or_b32_e32 v35, v28, v13
	s_wait_alu 0xfffd
	v_cndmask_b32_e64 v14, 0, 1, vcc_lo
	v_cvt_f64_f32_e32 v[28:29], v7
	v_cmp_ne_u32_e32 vcc_lo, 0, v11
	v_sub_nc_u32_e32 v13, 0x3f1, v33
	v_mul_f64_e32 v[22:23], s[8:9], v[22:23]
	v_and_or_b32 v7, 0xffe, v20, v14
	v_lshl_or_b32 v20, v30, 12, v32
	s_wait_alu 0xfffd
	v_cndmask_b32_e64 v11, 0, 1, vcc_lo
	v_cmp_eq_u32_e32 vcc_lo, 0x40f, v34
	v_med3_i32 v37, v13, 0, 13
	v_or_b32_e32 v36, 0x1000, v7
	ds_load_2addr_b32 v[13:14], v83 offset0:80 offset1:85
	v_lshl_or_b32 v11, v11, 9, 0x7c00
	s_wait_alu 0xfffd
	v_cndmask_b32_e32 v16, v16, v24, vcc_lo
	v_cmp_gt_i32_e32 vcc_lo, 1, v30
	v_lshrrev_b32_e32 v24, v37, v36
	s_wait_alu 0xfffd
	v_cndmask_b32_e32 v20, v20, v35, vcc_lo
	v_cmp_gt_i32_e32 vcc_lo, 31, v9
	s_delay_alu instid0(VALU_DEP_3) | instskip(SKIP_1) | instid1(VALU_DEP_3)
	v_lshlrev_b32_e32 v35, v37, v24
	s_wait_alu 0xfffd
	v_dual_cndmask_b32 v1, 0x7c00, v1 :: v_dual_and_b32 v34, 7, v20
	v_cmp_eq_u32_e32 vcc_lo, 0x40f, v9
	v_lshrrev_b32_e32 v9, 16, v17
	v_cmp_ne_u32_e64 s1, v35, v36
	s_delay_alu instid0(VALU_DEP_4)
	v_cmp_eq_u32_e64 s0, 3, v34
	s_wait_alu 0xfffd
	v_cndmask_b32_e32 v1, v1, v11, vcc_lo
	v_cmp_lt_i32_e32 vcc_lo, 5, v34
	v_and_or_b32 v11, 0x8000, v25, v16
	v_lshrrev_b32_e32 v16, 2, v20
	v_add_nc_u32_e32 v20, 0xfffffc10, v33
	v_and_or_b32 v1, 0x8000, v9, v1
	s_or_b32 vcc_lo, s0, vcc_lo
	v_cndmask_b32_e64 v9, 0, 1, s1
	s_wait_alu 0xfffe
	v_add_co_ci_u32_e32 v16, vcc_lo, 0, v16, vcc_lo
	s_wait_dscnt 0x0
	v_lshrrev_b32_e32 v33, 16, v13
	v_cmp_ne_u32_e32 vcc_lo, 0, v32
	v_or_b32_e32 v9, v24, v9
	v_lshl_or_b32 v34, v20, 12, v7
	v_mul_f64_e32 v[24:25], s[8:9], v[28:29]
	v_mul_f16_e32 v17, v90, v33
	s_wait_alu 0xfffd
	v_cndmask_b32_e64 v28, 0, 1, vcc_lo
	v_cmp_gt_i32_e32 vcc_lo, 1, v20
	v_and_or_b32 v22, 0x1ff, v23, v22
	v_and_b32_e32 v11, 0xffff, v11
	v_fmac_f16_e32 v17, v87, v13
	v_mul_f16_e32 v13, v90, v13
	s_wait_alu 0xfffd
	v_cndmask_b32_e32 v9, v34, v9, vcc_lo
	v_cmp_gt_i32_e32 vcc_lo, 31, v30
	v_cmp_ne_u32_e64 s1, 0, v22
	v_lshl_or_b32 v28, v28, 9, 0x7c00
	v_fma_f16 v13, v87, v33, -v13
	s_wait_alu 0xfffd
	v_dual_cndmask_b32 v29, 0x7c00, v16 :: v_dual_and_b32 v32, 7, v9
	v_cvt_f32_f16_e32 v16, v17
	v_lshrrev_b32_e32 v9, 2, v9
	v_cvt_f32_f16_e32 v13, v13
	s_delay_alu instid0(VALU_DEP_4)
	v_cmp_lt_i32_e32 vcc_lo, 5, v32
	v_cmp_eq_u32_e64 s0, 3, v32
	v_cvt_f64_f32_e32 v[16:17], v16
	v_lshl_or_b32 v1, v1, 16, v11
	s_wait_alu 0xf1ff
	v_cndmask_b32_e64 v11, 0, 1, s1
	v_lshrrev_b32_e32 v22, 8, v23
	s_or_b32 vcc_lo, s0, vcc_lo
	v_bfe_u32 v32, v23, 20, 11
	s_wait_alu 0xfffe
	v_add_co_ci_u32_e32 v9, vcc_lo, 0, v9, vcc_lo
	v_cmp_ne_u32_e32 vcc_lo, 0, v7
	v_and_or_b32 v11, 0xffe, v22, v11
	v_sub_nc_u32_e32 v22, 0x3f1, v32
	v_lshrrev_b32_e32 v23, 16, v23
	s_wait_alu 0xfffd
	v_cndmask_b32_e64 v7, 0, 1, vcc_lo
	v_cmp_eq_u32_e32 vcc_lo, 0x40f, v30
	v_or_b32_e32 v33, 0x1000, v11
	v_med3_i32 v22, v22, 0, 13
	s_delay_alu instid0(VALU_DEP_4)
	v_lshl_or_b32 v7, v7, 9, 0x7c00
	s_wait_alu 0xfffd
	v_cndmask_b32_e32 v30, v29, v28, vcc_lo
	v_cvt_f64_f32_e32 v[28:29], v13
	v_cmp_gt_i32_e32 vcc_lo, 31, v20
	v_lshrrev_b32_e32 v34, v22, v33
	v_and_or_b32 v24, 0x1ff, v25, v24
	v_lshrrev_b32_e32 v13, 16, v31
	s_wait_alu 0xfffd
	v_cndmask_b32_e32 v9, 0x7c00, v9, vcc_lo
	v_cmp_eq_u32_e32 vcc_lo, 0x40f, v20
	v_lshlrev_b32_e32 v22, v22, v34
	v_and_or_b32 v13, 0x8000, v13, v30
	v_lshrrev_b32_e32 v30, 8, v25
	s_wait_alu 0xfffd
	v_cndmask_b32_e32 v7, v9, v7, vcc_lo
	v_lshrrev_b32_e32 v9, 16, v21
	v_cmp_ne_u32_e32 vcc_lo, 0, v24
	v_and_b32_e32 v13, 0xffff, v13
	v_mul_f64_e32 v[20:21], s[8:9], v[16:17]
	s_wait_alu 0xfffd
	v_cndmask_b32_e64 v24, 0, 1, vcc_lo
	v_cmp_ne_u32_e32 vcc_lo, v22, v33
	v_and_or_b32 v7, 0x8000, v9, v7
	v_bfe_u32 v9, v25, 20, 11
	v_add_nc_u32_e32 v22, 0xfffffc10, v32
	v_and_or_b32 v24, 0xffe, v30, v24
	s_wait_alu 0xfffd
	v_cndmask_b32_e64 v16, 0, 1, vcc_lo
	v_add_co_u32 v30, vcc_lo, v26, s2
	v_sub_nc_u32_e32 v17, 0x3f1, v9
	s_wait_alu 0xfffd
	v_add_co_ci_u32_e32 v31, vcc_lo, s3, v27, vcc_lo
	v_or_b32_e32 v16, v34, v16
	v_lshl_or_b32 v32, v22, 12, v11
	v_cmp_gt_i32_e32 vcc_lo, 1, v22
	v_or_b32_e32 v33, 0x1000, v24
	v_med3_i32 v34, v17, 0, 13
	v_lshl_or_b32 v7, v7, 16, v13
	global_store_b32 v[30:31], v1, off
	s_wait_alu 0xfffd
	v_cndmask_b32_e32 v13, v32, v16, vcc_lo
	v_mul_f64_e32 v[26:27], s[8:9], v[28:29]
	v_lshrrev_b32_e32 v32, v34, v33
	v_add_co_u32 v16, vcc_lo, v30, s2
	s_delay_alu instid0(VALU_DEP_4)
	v_and_b32_e32 v35, 7, v13
	s_wait_alu 0xfffd
	v_add_co_ci_u32_e32 v17, vcc_lo, s3, v31, vcc_lo
	v_lshlrev_b32_e32 v34, v34, v32
	v_lshrrev_b32_e32 v1, 16, v8
	v_cmp_lt_i32_e32 vcc_lo, 5, v35
	v_cmp_eq_u32_e64 s0, 3, v35
	v_lshrrev_b32_e32 v5, 2, v13
	global_store_b32 v[16:17], v7, off
	v_mul_f16_e32 v7, v88, v1
	v_cmp_ne_u32_e64 s1, v34, v33
	s_or_b32 vcc_lo, s0, vcc_lo
	v_add_nc_u32_e32 v9, 0xfffffc10, v9
	v_and_or_b32 v20, 0x1ff, v21, v20
	s_wait_alu 0xfffe
	v_add_co_ci_u32_e32 v5, vcc_lo, 0, v5, vcc_lo
	v_cndmask_b32_e64 v13, 0, 1, s1
	v_fmac_f16_e32 v7, v85, v8
	v_cmp_ne_u32_e32 vcc_lo, 0, v20
	v_lshl_or_b32 v28, v9, 12, v24
	v_lshrrev_b32_e32 v30, 8, v21
	v_or_b32_e32 v13, v32, v13
	v_cvt_f32_f16_e32 v7, v7
	s_wait_alu 0xfffd
	v_cndmask_b32_e64 v20, 0, 1, vcc_lo
	v_cmp_gt_i32_e32 vcc_lo, 1, v9
	v_bfe_u32 v31, v21, 20, 11
	v_mul_f16_e32 v8, v88, v8
	s_delay_alu instid0(VALU_DEP_4)
	v_and_or_b32 v20, 0xffe, v30, v20
	s_wait_alu 0xfffd
	v_cndmask_b32_e32 v13, v28, v13, vcc_lo
	v_cvt_f64_f32_e32 v[28:29], v7
	v_sub_nc_u32_e32 v7, 0x3f1, v31
	v_cmp_ne_u32_e32 vcc_lo, 0, v11
	v_or_b32_e32 v32, 0x1000, v20
	v_and_or_b32 v26, 0x1ff, v27, v26
	v_and_b32_e32 v30, 7, v13
	v_med3_i32 v7, v7, 0, 13
	s_wait_alu 0xfffd
	v_cndmask_b32_e64 v11, 0, 1, vcc_lo
	v_cmp_gt_i32_e32 vcc_lo, 31, v22
	v_cmp_ne_u32_e64 s1, 0, v26
	v_fma_f16 v1, v85, v1, -v8
	v_lshrrev_b32_e32 v33, v7, v32
	v_lshl_or_b32 v11, v11, 9, 0x7c00
	s_wait_alu 0xfffd
	v_cndmask_b32_e32 v5, 0x7c00, v5, vcc_lo
	v_cmp_lt_i32_e32 vcc_lo, 5, v30
	v_cmp_eq_u32_e64 s0, 3, v30
	v_lshlrev_b32_e32 v7, v7, v33
	s_wait_alu 0xf1ff
	v_cndmask_b32_e64 v26, 0, 1, s1
	v_lshrrev_b32_e32 v30, 8, v27
	v_cmp_eq_u32_e64 s1, 0x40f, v22
	v_cvt_f32_f16_e32 v1, v1
	v_bfe_u32 v34, v27, 20, 11
	v_lshrrev_b32_e32 v13, 2, v13
	s_or_b32 vcc_lo, s0, vcc_lo
	v_cndmask_b32_e64 v5, v5, v11, s1
	v_and_or_b32 v11, 0xffe, v30, v26
	v_cmp_ne_u32_e64 s1, v7, v32
	v_add_nc_u32_e32 v26, 0xfffffc10, v31
	v_cvt_f64_f32_e32 v[30:31], v1
	v_sub_nc_u32_e32 v8, 0x3f1, v34
	s_wait_alu 0xfffe
	v_add_co_ci_u32_e32 v13, vcc_lo, 0, v13, vcc_lo
	s_wait_alu 0xf1ff
	v_cndmask_b32_e64 v7, 0, 1, s1
	v_cmp_ne_u32_e32 vcc_lo, 0, v24
	v_or_b32_e32 v22, 0x1000, v11
	v_med3_i32 v1, v8, 0, 13
	v_add_nc_u32_e32 v34, 0xfffffc10, v34
	v_or_b32_e32 v32, v33, v7
	v_lshl_or_b32 v33, v26, 12, v20
	s_wait_alu 0xfffd
	v_cndmask_b32_e64 v24, 0, 1, vcc_lo
	v_cmp_gt_i32_e32 vcc_lo, 1, v26
	v_lshrrev_b32_e32 v35, v1, v22
	v_mul_f64_e32 v[28:29], s[8:9], v[28:29]
	ds_load_2addr_b32 v[7:8], v83 offset0:110 offset1:115
	v_lshl_or_b32 v24, v24, 9, 0x7c00
	s_wait_alu 0xfffd
	v_cndmask_b32_e32 v32, v33, v32, vcc_lo
	v_cmp_gt_i32_e32 vcc_lo, 31, v9
	v_lshlrev_b32_e32 v1, v1, v35
	v_and_or_b32 v5, 0x8000, v23, v5
	s_delay_alu instid0(VALU_DEP_4)
	v_and_b32_e32 v33, 7, v32
	s_wait_alu 0xfffd
	v_cndmask_b32_e32 v13, 0x7c00, v13, vcc_lo
	v_cmp_eq_u32_e32 vcc_lo, 0x40f, v9
	v_cmp_ne_u32_e64 s0, v1, v22
	v_and_b32_e32 v5, 0xffff, v5
	s_wait_alu 0xfffd
	v_cndmask_b32_e32 v9, v13, v24, vcc_lo
	v_lshrrev_b32_e32 v13, 16, v25
	v_cmp_lt_i32_e32 vcc_lo, 5, v33
	s_wait_alu 0xf1ff
	v_cndmask_b32_e64 v1, 0, 1, s0
	v_cmp_eq_u32_e64 s0, 3, v33
	v_lshl_or_b32 v24, v34, 12, v11
	v_and_or_b32 v9, 0x8000, v13, v9
	v_lshrrev_b32_e32 v13, 2, v32
	s_wait_dscnt 0x0
	v_lshrrev_b32_e32 v32, 16, v7
	s_or_b32 vcc_lo, s0, vcc_lo
	v_mul_f64_e32 v[22:23], s[8:9], v[30:31]
	v_or_b32_e32 v1, v35, v1
	s_wait_alu 0xfffe
	v_add_co_ci_u32_e32 v13, vcc_lo, 0, v13, vcc_lo
	v_cmp_ne_u32_e32 vcc_lo, 0, v20
	v_mul_f16_e32 v25, v86, v32
	v_lshrrev_b32_e32 v33, 16, v21
	v_lshl_or_b32 v5, v9, 16, v5
	s_wait_alu 0xfffd
	v_cndmask_b32_e64 v20, 0, 1, vcc_lo
	v_cmp_gt_i32_e32 vcc_lo, 1, v34
	v_fmac_f16_e32 v25, v82, v7
	v_mul_f16_e32 v7, v86, v7
	v_and_or_b32 v28, 0x1ff, v29, v28
	v_lshl_or_b32 v20, v20, 9, 0x7c00
	s_wait_alu 0xfffd
	v_cndmask_b32_e32 v1, v24, v1, vcc_lo
	v_cmp_gt_i32_e32 vcc_lo, 31, v26
	v_cvt_f32_f16_e32 v25, v25
	v_cmp_ne_u32_e64 s1, 0, v28
	v_bfe_u32 v28, v29, 20, 11
	v_and_b32_e32 v24, 7, v1
	s_wait_alu 0xfffd
	v_cndmask_b32_e32 v13, 0x7c00, v13, vcc_lo
	v_cmp_eq_u32_e32 vcc_lo, 0x40f, v26
	v_lshrrev_b32_e32 v1, 2, v1
	v_sub_nc_u32_e32 v26, 0x3f1, v28
	v_cmp_eq_u32_e64 s0, 3, v24
	v_fma_f16 v7, v82, v32, -v7
	s_wait_alu 0xfffd
	v_cndmask_b32_e32 v13, v13, v20, vcc_lo
	v_cvt_f64_f32_e32 v[20:21], v25
	v_cmp_lt_i32_e32 vcc_lo, 5, v24
	s_wait_alu 0xf1ff
	v_cndmask_b32_e64 v24, 0, 1, s1
	v_lshrrev_b32_e32 v25, 8, v29
	v_med3_i32 v26, v26, 0, 13
	v_cvt_f32_f16_e32 v7, v7
	s_or_b32 vcc_lo, s0, vcc_lo
	v_add_nc_u32_e32 v28, 0xfffffc10, v28
	s_wait_alu 0xfffe
	v_add_co_ci_u32_e32 v1, vcc_lo, 0, v1, vcc_lo
	v_and_or_b32 v35, 0xffe, v25, v24
	v_cmp_ne_u32_e32 vcc_lo, 0, v11
	v_and_or_b32 v22, 0x1ff, v23, v22
	v_mad_co_u64_u32 v[24:25], null, s4, v80, 0
	s_delay_alu instid0(VALU_DEP_4)
	v_or_b32_e32 v36, 0x1000, v35
	s_wait_alu 0xfffd
	v_cndmask_b32_e64 v11, 0, 1, vcc_lo
	v_cmp_gt_i32_e32 vcc_lo, 31, v34
	v_bfe_u32 v37, v23, 20, 11
	v_and_or_b32 v13, 0x8000, v33, v13
	v_lshrrev_b32_e32 v32, v26, v36
	v_lshl_or_b32 v11, v11, 9, 0x7c00
	s_wait_alu 0xfffd
	v_cndmask_b32_e32 v30, 0x7c00, v1, vcc_lo
	v_cmp_eq_u32_e32 vcc_lo, 0x40f, v34
	v_dual_mov_b32 v1, v25 :: v_dual_lshlrev_b32 v34, v26, v32
	v_lshrrev_b32_e32 v33, 16, v10
	s_wait_alu 0xfffd
	v_cndmask_b32_e32 v11, v30, v11, vcc_lo
	v_cmp_ne_u32_e32 vcc_lo, 0, v22
	v_cvt_f64_f32_e32 v[30:31], v7
	v_lshrrev_b32_e32 v22, 8, v23
	v_mad_co_u64_u32 v[25:26], null, s5, v80, v[1:2]
	s_wait_alu 0xfffd
	v_cndmask_b32_e64 v7, 0, 1, vcc_lo
	v_cmp_ne_u32_e32 vcc_lo, v34, v36
	v_lshrrev_b32_e32 v1, 16, v27
	v_lshl_or_b32 v27, v28, 12, v35
	v_mul_f64_e32 v[20:21], s[8:9], v[20:21]
	v_and_or_b32 v7, 0xffe, v22, v7
	v_sub_nc_u32_e32 v22, 0x3f1, v37
	s_wait_alu 0xfffd
	v_cndmask_b32_e64 v26, 0, 1, vcc_lo
	v_cmp_gt_i32_e32 vcc_lo, 1, v28
	v_and_or_b32 v1, 0x8000, v1, v11
	v_or_b32_e32 v9, 0x1000, v7
	v_med3_i32 v22, v22, 0, 13
	v_or_b32_e32 v26, v32, v26
	v_and_b32_e32 v11, 0xffff, v13
	v_lshlrev_b64_e32 v[24:25], 2, v[24:25]
	s_delay_alu instid0(VALU_DEP_4)
	v_lshrrev_b32_e32 v32, v22, v9
	s_wait_alu 0xfffd
	v_cndmask_b32_e32 v26, v27, v26, vcc_lo
	v_add_co_u32 v16, vcc_lo, v16, s2
	s_wait_alu 0xfffd
	v_add_co_ci_u32_e32 v17, vcc_lo, s3, v17, vcc_lo
	v_lshlrev_b32_e32 v13, v22, v32
	v_and_b32_e32 v22, 7, v26
	v_lshl_or_b32 v1, v1, 16, v11
	v_lshrrev_b32_e32 v11, 2, v26
	s_delay_alu instid0(VALU_DEP_4) | instskip(NEXT) | instid1(VALU_DEP_4)
	v_cmp_ne_u32_e64 s1, v13, v9
	v_cmp_lt_i32_e32 vcc_lo, 5, v22
	v_cmp_eq_u32_e64 s0, 3, v22
	v_mul_f16_e32 v22, v84, v33
	v_add_nc_u32_e32 v13, 0xfffffc10, v37
	s_wait_alu 0xf1ff
	v_cndmask_b32_e64 v9, 0, 1, s1
	v_lshrrev_b32_e32 v37, 16, v23
	s_or_b32 vcc_lo, s0, vcc_lo
	v_fmac_f16_e32 v22, v79, v10
	s_wait_alu 0xfffe
	v_add_co_ci_u32_e32 v11, vcc_lo, 0, v11, vcc_lo
	v_cmp_ne_u32_e32 vcc_lo, 0, v35
	v_mul_f64_e32 v[26:27], s[8:9], v[30:31]
	v_or_b32_e32 v9, v32, v9
	v_lshl_or_b32 v30, v13, 12, v7
	v_cvt_f32_f16_e32 v22, v22
	s_wait_alu 0xfffd
	v_cndmask_b32_e64 v32, 0, 1, vcc_lo
	v_cmp_gt_i32_e32 vcc_lo, 1, v13
	v_and_or_b32 v20, 0x1ff, v21, v20
	v_lshrrev_b32_e32 v34, 8, v21
	v_bfe_u32 v35, v21, 20, 11
	v_mul_f16_e32 v10, v84, v10
	s_wait_alu 0xfffd
	v_cndmask_b32_e32 v9, v30, v9, vcc_lo
	v_cvt_f64_f32_e32 v[30:31], v22
	v_cmp_gt_i32_e32 vcc_lo, 31, v28
	v_lshl_or_b32 v22, v32, 9, 0x7c00
	v_fma_f16 v10, v79, v33, -v10
	v_and_b32_e32 v32, 7, v9
	v_lshrrev_b32_e32 v9, 2, v9
	s_wait_alu 0xfffd
	v_cndmask_b32_e32 v11, 0x7c00, v11, vcc_lo
	v_cmp_ne_u32_e32 vcc_lo, 0, v20
	v_cvt_f32_f16_e32 v10, v10
	v_cmp_eq_u32_e64 s0, 3, v32
	v_lshrrev_b32_e32 v21, 16, v21
	s_wait_alu 0xfffd
	v_cndmask_b32_e64 v20, 0, 1, vcc_lo
	v_cmp_eq_u32_e32 vcc_lo, 0x40f, v28
	s_delay_alu instid0(VALU_DEP_2)
	v_and_or_b32 v20, 0xffe, v34, v20
	s_wait_alu 0xfffd
	v_cndmask_b32_e32 v11, v11, v22, vcc_lo
	v_cmp_lt_i32_e32 vcc_lo, 5, v32
	v_sub_nc_u32_e32 v22, 0x3f1, v35
	v_lshrrev_b32_e32 v32, 16, v29
	v_or_b32_e32 v34, 0x1000, v20
	v_cvt_f64_f32_e32 v[28:29], v10
	s_or_b32 vcc_lo, s0, vcc_lo
	v_med3_i32 v22, v22, 0, 13
	s_wait_alu 0xfffe
	v_add_co_ci_u32_e32 v9, vcc_lo, 0, v9, vcc_lo
	v_cmp_ne_u32_e32 vcc_lo, 0, v7
	v_and_or_b32 v26, 0x1ff, v27, v26
	v_lshrrev_b32_e32 v36, v22, v34
	v_lshrrev_b32_e32 v10, 8, v27
	v_bfe_u32 v33, v27, 20, 11
	s_wait_alu 0xfffd
	v_cndmask_b32_e64 v7, 0, 1, vcc_lo
	v_cmp_gt_i32_e32 vcc_lo, 31, v13
	v_lshlrev_b32_e32 v22, v22, v36
	v_and_or_b32 v11, 0x8000, v32, v11
	v_mul_f64_e32 v[30:31], s[8:9], v[30:31]
	s_wait_alu 0xfffd
	v_cndmask_b32_e32 v9, 0x7c00, v9, vcc_lo
	v_cmp_ne_u32_e32 vcc_lo, 0, v26
	v_lshl_or_b32 v7, v7, 9, 0x7c00
	v_and_b32_e32 v11, 0xffff, v11
	s_wait_alu 0xfffd
	v_cndmask_b32_e64 v26, 0, 1, vcc_lo
	v_cmp_ne_u32_e32 vcc_lo, v22, v34
	v_add_nc_u32_e32 v34, 0xfffffc10, v35
	s_delay_alu instid0(VALU_DEP_3)
	v_and_or_b32 v26, 0xffe, v10, v26
	s_wait_alu 0xfffd
	v_cndmask_b32_e64 v22, 0, 1, vcc_lo
	v_sub_nc_u32_e32 v10, 0x3f1, v33
	v_cmp_eq_u32_e32 vcc_lo, 0x40f, v13
	v_or_b32_e32 v13, 0x1000, v26
	s_delay_alu instid0(VALU_DEP_4) | instskip(NEXT) | instid1(VALU_DEP_4)
	v_or_b32_e32 v22, v36, v22
	v_med3_i32 v35, v10, 0, 13
	s_wait_alu 0xfffd
	v_cndmask_b32_e32 v7, v9, v7, vcc_lo
	ds_load_2addr_b32 v[9:10], v83 offset0:140 offset1:145
	v_lshl_or_b32 v36, v34, 12, v20
	v_cmp_gt_i32_e32 vcc_lo, 1, v34
	v_lshrrev_b32_e32 v38, v35, v13
	v_and_or_b32 v7, 0x8000, v37, v7
	s_wait_alu 0xfffd
	v_cndmask_b32_e32 v32, v36, v22, vcc_lo
	v_add_co_u32 v22, vcc_lo, v19, v24
	v_lshlrev_b32_e32 v24, v35, v38
	s_wait_alu 0xfffd
	v_add_co_ci_u32_e32 v23, vcc_lo, v18, v25, vcc_lo
	v_and_b32_e32 v25, 7, v32
	global_store_b32 v[16:17], v5, off
	global_store_b32 v[22:23], v1, off
	v_cmp_ne_u32_e64 s1, v24, v13
	v_lshrrev_b32_e32 v24, 2, v32
	v_cmp_lt_i32_e32 vcc_lo, 5, v25
	v_cmp_eq_u32_e64 s0, 3, v25
	v_lshl_or_b32 v1, v7, 16, v11
	s_wait_dscnt 0x0
	v_lshrrev_b32_e32 v5, 16, v9
	s_wait_alu 0xf1ff
	v_cndmask_b32_e64 v7, 0, 1, s1
	v_add_nc_u32_e32 v11, 0xfffffc10, v33
	s_or_b32 vcc_lo, s0, vcc_lo
	v_mul_f64_e32 v[22:23], s[8:9], v[28:29]
	s_wait_alu 0xfffe
	v_add_co_ci_u32_e32 v29, vcc_lo, 0, v24, vcc_lo
	v_mul_f16_e32 v13, v81, v5
	v_or_b32_e32 v7, v38, v7
	v_lshl_or_b32 v25, v11, 12, v26
	v_and_or_b32 v28, 0x1ff, v31, v30
	v_cmp_gt_i32_e32 vcc_lo, 1, v11
	v_fmac_f16_e32 v13, v77, v9
	v_lshrrev_b32_e32 v30, 8, v31
	v_bfe_u32 v32, v31, 20, 11
	v_mul_f16_e32 v9, v81, v9
	s_wait_alu 0xfffd
	v_cndmask_b32_e32 v7, v25, v7, vcc_lo
	v_cmp_ne_u32_e32 vcc_lo, 0, v28
	v_cvt_f32_f16_e32 v13, v13
	v_fma_f16 v5, v77, v5, -v9
	s_wait_alu 0xfffd
	v_cndmask_b32_e64 v28, 0, 1, vcc_lo
	v_cmp_ne_u32_e32 vcc_lo, 0, v20
	v_cvt_f64_f32_e32 v[24:25], v13
	v_and_b32_e32 v20, 7, v7
	v_lshrrev_b32_e32 v7, 2, v7
	v_and_or_b32 v30, 0xffe, v30, v28
	s_wait_alu 0xfffd
	v_cndmask_b32_e64 v13, 0, 1, vcc_lo
	v_cmp_gt_i32_e32 vcc_lo, 31, v34
	v_cmp_eq_u32_e64 s0, 3, v20
	v_sub_nc_u32_e32 v28, 0x3f1, v32
	v_or_b32_e32 v35, 0x1000, v30
	v_lshl_or_b32 v13, v13, 9, 0x7c00
	s_wait_alu 0xfffd
	v_cndmask_b32_e32 v33, 0x7c00, v29, vcc_lo
	v_cmp_lt_i32_e32 vcc_lo, 5, v20
	v_med3_i32 v28, v28, 0, 13
	v_cvt_f32_f16_e32 v5, v5
	v_add_nc_u32_e32 v32, 0xfffffc10, v32
	s_or_b32 vcc_lo, s0, vcc_lo
	s_delay_alu instid0(VALU_DEP_3)
	v_lshrrev_b32_e32 v9, v28, v35
	s_wait_alu 0xfffe
	v_add_co_ci_u32_e32 v7, vcc_lo, 0, v7, vcc_lo
	v_cmp_ne_u32_e32 vcc_lo, 0, v26
	v_and_or_b32 v22, 0x1ff, v23, v22
	v_lshlrev_b32_e32 v20, v28, v9
	v_cvt_f64_f32_e32 v[28:29], v5
	s_wait_alu 0xfffd
	v_cndmask_b32_e64 v26, 0, 1, vcc_lo
	v_cmp_eq_u32_e32 vcc_lo, 0x40f, v34
	s_delay_alu instid0(VALU_DEP_2) | instskip(SKIP_4) | instid1(VALU_DEP_3)
	v_lshl_or_b32 v26, v26, 9, 0x7c00
	s_wait_alu 0xfffd
	v_cndmask_b32_e32 v5, v33, v13, vcc_lo
	v_cmp_gt_i32_e32 vcc_lo, 31, v11
	v_bfe_u32 v33, v23, 20, 11
	v_and_or_b32 v5, 0x8000, v21, v5
	s_wait_alu 0xfffd
	v_cndmask_b32_e32 v7, 0x7c00, v7, vcc_lo
	v_cmp_ne_u32_e32 vcc_lo, 0, v22
	v_lshrrev_b32_e32 v22, 8, v23
	v_mul_f64_e32 v[24:25], s[8:9], v[24:25]
	v_and_b32_e32 v5, 0xffff, v5
	s_wait_alu 0xfffd
	v_cndmask_b32_e64 v13, 0, 1, vcc_lo
	v_cmp_ne_u32_e32 vcc_lo, v20, v35
	v_lshrrev_b32_e32 v35, 16, v6
	s_delay_alu instid0(VALU_DEP_3)
	v_and_or_b32 v13, 0xffe, v22, v13
	s_wait_alu 0xfffd
	v_cndmask_b32_e64 v20, 0, 1, vcc_lo
	v_cmp_eq_u32_e32 vcc_lo, 0x40f, v11
	v_sub_nc_u32_e32 v22, 0x3f1, v33
	v_lshrrev_b32_e32 v11, 16, v27
	v_or_b32_e32 v34, 0x1000, v13
	v_or_b32_e32 v9, v9, v20
	v_lshl_or_b32 v20, v32, 12, v30
	s_wait_alu 0xfffd
	v_cndmask_b32_e32 v7, v7, v26, vcc_lo
	v_cmp_gt_i32_e32 vcc_lo, 1, v32
	v_med3_i32 v22, v22, 0, 13
	v_mul_f16_e32 v27, v78, v35
	s_delay_alu instid0(VALU_DEP_4)
	v_and_or_b32 v7, 0x8000, v11, v7
	s_wait_alu 0xfffd
	v_cndmask_b32_e32 v9, v20, v9, vcc_lo
	v_lshrrev_b32_e32 v26, v22, v34
	v_add_co_u32 v16, vcc_lo, v16, s6
	s_wait_alu 0xfffd
	v_add_co_ci_u32_e32 v17, vcc_lo, s7, v17, vcc_lo
	v_and_b32_e32 v20, 7, v9
	v_lshlrev_b32_e32 v22, v22, v26
	v_lshrrev_b32_e32 v9, 2, v9
	v_fmac_f16_e32 v27, v75, v6
	v_lshl_or_b32 v7, v7, 16, v5
	v_cmp_lt_i32_e32 vcc_lo, 5, v20
	v_cmp_eq_u32_e64 s0, 3, v20
	v_cmp_ne_u32_e64 s1, v22, v34
	v_add_nc_u32_e32 v22, 0xfffffc10, v33
	v_mul_f64_e32 v[20:21], s[8:9], v[28:29]
	v_cvt_f32_f16_e32 v27, v27
	s_or_b32 vcc_lo, s0, vcc_lo
	v_cndmask_b32_e64 v11, 0, 1, s1
	s_wait_alu 0xfffe
	v_add_co_ci_u32_e32 v9, vcc_lo, 0, v9, vcc_lo
	v_cmp_ne_u32_e32 vcc_lo, 0, v30
	v_lshl_or_b32 v28, v22, 12, v13
	v_or_b32_e32 v11, v26, v11
	v_cvt_f64_f32_e32 v[26:27], v27
	v_and_or_b32 v24, 0x1ff, v25, v24
	s_wait_alu 0xfffd
	v_cndmask_b32_e64 v29, 0, 1, vcc_lo
	v_cmp_gt_i32_e32 vcc_lo, 1, v22
	v_bfe_u32 v33, v25, 20, 11
	v_mul_f16_e32 v6, v78, v6
	global_store_b32 v[16:17], v1, off
	v_lshl_or_b32 v29, v29, 9, 0x7c00
	s_wait_alu 0xfffd
	v_cndmask_b32_e32 v11, v28, v11, vcc_lo
	v_cmp_gt_i32_e32 vcc_lo, 31, v32
	v_lshrrev_b32_e32 v28, 8, v25
	v_sub_nc_u32_e32 v5, 0x3f1, v33
	v_fma_f16 v6, v75, v35, -v6
	s_wait_alu 0xfffd
	v_dual_cndmask_b32 v9, 0x7c00, v9 :: v_dual_and_b32 v30, 7, v11
	v_cmp_ne_u32_e32 vcc_lo, 0, v24
	v_med3_i32 v5, v5, 0, 13
	v_cvt_f32_f16_e32 v6, v6
	s_delay_alu instid0(VALU_DEP_4)
	v_cmp_eq_u32_e64 s0, 3, v30
	v_lshrrev_b32_e32 v11, 2, v11
	s_wait_alu 0xfffd
	v_cndmask_b32_e64 v24, 0, 1, vcc_lo
	v_cmp_eq_u32_e32 vcc_lo, 0x40f, v32
	v_lshrrev_b32_e32 v1, 16, v15
	s_delay_alu instid0(VALU_DEP_3)
	v_and_or_b32 v24, 0xffe, v28, v24
	s_wait_alu 0xfffd
	v_cndmask_b32_e32 v9, v9, v29, vcc_lo
	v_cmp_lt_i32_e32 vcc_lo, 5, v30
	v_lshrrev_b32_e32 v29, 16, v31
	v_and_or_b32 v20, 0x1ff, v21, v20
	v_or_b32_e32 v28, 0x1000, v24
	v_lshrrev_b32_e32 v32, 8, v21
	s_or_b32 vcc_lo, s0, vcc_lo
	v_bfe_u32 v34, v21, 20, 11
	s_wait_alu 0xfffe
	v_add_co_ci_u32_e32 v11, vcc_lo, 0, v11, vcc_lo
	v_lshrrev_b32_e32 v30, v5, v28
	v_cmp_ne_u32_e32 vcc_lo, 0, v20
	v_mul_f64_e32 v[26:27], s[8:9], v[26:27]
	v_and_or_b32 v9, 0x8000, v29, v9
	s_delay_alu instid0(VALU_DEP_4)
	v_lshlrev_b32_e32 v31, v5, v30
	v_cvt_f64_f32_e32 v[5:6], v6
	s_wait_alu 0xfffd
	v_cndmask_b32_e64 v20, 0, 1, vcc_lo
	v_cmp_ne_u32_e32 vcc_lo, 0, v13
	v_and_b32_e32 v9, 0xffff, v9
	s_delay_alu instid0(VALU_DEP_3)
	v_and_or_b32 v20, 0xffe, v32, v20
	s_wait_alu 0xfffd
	v_cndmask_b32_e64 v13, 0, 1, vcc_lo
	v_sub_nc_u32_e32 v32, 0x3f1, v34
	v_cmp_ne_u32_e32 vcc_lo, v31, v28
	v_add_nc_u32_e32 v31, 0xfffffc10, v33
	v_or_b32_e32 v33, 0x1000, v20
	v_lshl_or_b32 v13, v13, 9, 0x7c00
	v_med3_i32 v32, v32, 0, 13
	s_wait_alu 0xfffd
	v_cndmask_b32_e64 v28, 0, 1, vcc_lo
	v_cmp_gt_i32_e32 vcc_lo, 31, v22
	v_cmp_eq_u32_e64 s1, 0x40f, v31
	v_lshrrev_b32_e32 v35, v32, v33
	s_delay_alu instid0(VALU_DEP_4)
	v_or_b32_e32 v28, v30, v28
	s_wait_alu 0xfffd
	v_cndmask_b32_e32 v11, 0x7c00, v11, vcc_lo
	v_lshl_or_b32 v30, v31, 12, v24
	v_cmp_gt_i32_e32 vcc_lo, 1, v31
	s_wait_alu 0xfffd
	s_delay_alu instid0(VALU_DEP_2) | instskip(SKIP_1) | instid1(VALU_DEP_2)
	v_dual_cndmask_b32 v28, v30, v28 :: v_dual_lshlrev_b32 v29, v32, v35
	v_cmp_eq_u32_e32 vcc_lo, 0x40f, v22
	v_cmp_ne_u32_e64 s0, v29, v33
	v_add_nc_u32_e32 v29, 0xfffffc10, v34
	s_wait_alu 0xfffd
	v_dual_cndmask_b32 v11, v11, v13 :: v_dual_and_b32 v30, 7, v28
	v_lshrrev_b32_e32 v13, 16, v23
	v_add_co_u32 v22, vcc_lo, v16, s2
	s_wait_alu 0xfffd
	v_add_co_ci_u32_e32 v23, vcc_lo, s3, v17, vcc_lo
	v_mul_f64_e32 v[5:6], s[8:9], v[5:6]
	v_and_or_b32 v11, 0x8000, v13, v11
	v_cmp_lt_i32_e32 vcc_lo, 5, v30
	s_wait_alu 0xf1ff
	v_cndmask_b32_e64 v13, 0, 1, s0
	v_cmp_eq_u32_e64 s0, 3, v30
	v_mul_f16_e32 v16, v76, v1
	v_lshrrev_b32_e32 v17, 2, v28
	v_and_or_b32 v26, 0x1ff, v27, v26
	v_or_b32_e32 v13, v35, v13
	s_or_b32 vcc_lo, s0, vcc_lo
	v_fmac_f16_e32 v16, v73, v15
	s_wait_alu 0xfffe
	v_add_co_ci_u32_e32 v30, vcc_lo, 0, v17, vcc_lo
	v_cmp_ne_u32_e32 vcc_lo, 0, v26
	v_lshl_or_b32 v28, v29, 12, v20
	v_cvt_f32_f16_e32 v16, v16
	v_lshrrev_b32_e32 v32, 8, v27
	v_bfe_u32 v33, v27, 20, 11
	s_wait_alu 0xfffd
	v_cndmask_b32_e64 v26, 0, 1, vcc_lo
	v_cmp_gt_i32_e32 vcc_lo, 1, v29
	v_cvt_f64_f32_e32 v[16:17], v16
	v_mul_f16_e32 v15, v76, v15
	global_store_b32 v[22:23], v7, off
	v_and_or_b32 v26, 0xffe, v32, v26
	s_wait_alu 0xfffd
	v_cndmask_b32_e32 v13, v28, v13, vcc_lo
	v_cmp_ne_u32_e32 vcc_lo, 0, v24
	v_sub_nc_u32_e32 v28, 0x3f1, v33
	v_fma_f16 v1, v73, v1, -v15
	v_or_b32_e32 v34, 0x1000, v26
	v_and_b32_e32 v32, 7, v13
	s_wait_alu 0xfffd
	v_cndmask_b32_e64 v24, 0, 1, vcc_lo
	v_cmp_gt_i32_e32 vcc_lo, 31, v31
	v_lshrrev_b32_e32 v13, 2, v13
	v_med3_i32 v28, v28, 0, 13
	v_cmp_eq_u32_e64 s0, 3, v32
	v_lshl_or_b32 v24, v24, 9, 0x7c00
	s_wait_alu 0xfffd
	v_cndmask_b32_e32 v30, 0x7c00, v30, vcc_lo
	v_cmp_lt_i32_e32 vcc_lo, 5, v32
	v_lshrrev_b32_e32 v7, v28, v34
	v_and_or_b32 v5, 0x1ff, v6, v5
	v_cvt_f32_f16_e32 v1, v1
	v_cndmask_b32_e64 v30, v30, v24, s1
	s_or_b32 vcc_lo, s0, vcc_lo
	v_lshrrev_b32_e32 v31, 16, v25
	s_wait_alu 0xfffe
	v_add_co_ci_u32_e32 v13, vcc_lo, 0, v13, vcc_lo
	v_cmp_gt_i32_e32 vcc_lo, 31, v29
	v_cvt_f64_f32_e32 v[24:25], v1
	v_lshrrev_b32_e32 v1, 8, v6
	v_bfe_u32 v32, v6, 20, 11
	v_add_nc_u32_e32 v33, 0xfffffc10, v33
	s_wait_alu 0xfffd
	v_dual_cndmask_b32 v13, 0x7c00, v13 :: v_dual_lshlrev_b32 v28, v28, v7
	v_cmp_ne_u32_e32 vcc_lo, 0, v5
	v_lshl_or_b32 v9, v11, 16, v9
	v_and_or_b32 v30, 0x8000, v31, v30
	v_lshrrev_b32_e32 v31, 16, v2
	v_lshrrev_b32_e32 v27, 16, v27
	s_wait_alu 0xfffd
	v_cndmask_b32_e64 v5, 0, 1, vcc_lo
	v_cmp_ne_u32_e32 vcc_lo, v28, v34
	v_mul_f64_e32 v[15:16], s[8:9], v[16:17]
	s_delay_alu instid0(VALU_DEP_3)
	v_and_or_b32 v1, 0xffe, v1, v5
	s_wait_alu 0xfffd
	v_cndmask_b32_e64 v28, 0, 1, vcc_lo
	v_sub_nc_u32_e32 v5, 0x3f1, v32
	v_cmp_ne_u32_e32 vcc_lo, 0, v20
	v_lshl_or_b32 v20, v33, 12, v26
	s_delay_alu instid0(VALU_DEP_4)
	v_or_b32_e32 v7, v7, v28
	v_or_b32_e32 v28, 0x1000, v1
	v_med3_i32 v5, v5, 0, 13
	s_wait_alu 0xfffd
	v_cndmask_b32_e64 v17, 0, 1, vcc_lo
	v_cmp_gt_i32_e32 vcc_lo, 1, v33
	s_delay_alu instid0(VALU_DEP_3) | instskip(NEXT) | instid1(VALU_DEP_3)
	v_lshrrev_b32_e32 v11, v5, v28
	v_lshl_or_b32 v17, v17, 9, 0x7c00
	s_wait_alu 0xfffd
	v_cndmask_b32_e32 v7, v20, v7, vcc_lo
	v_cmp_eq_u32_e32 vcc_lo, 0x40f, v29
	v_lshlrev_b32_e32 v5, v5, v11
	s_delay_alu instid0(VALU_DEP_3)
	v_and_b32_e32 v29, 7, v7
	s_wait_alu 0xfffd
	v_cndmask_b32_e32 v13, v13, v17, vcc_lo
	v_lshrrev_b32_e32 v17, 16, v21
	v_cmp_ne_u32_e64 s1, v5, v28
	v_add_co_u32 v20, vcc_lo, v22, s2
	s_wait_alu 0xfffd
	v_add_co_ci_u32_e32 v21, vcc_lo, s3, v23, vcc_lo
	v_and_or_b32 v13, 0x8000, v17, v13
	v_mul_f16_e32 v17, v74, v31
	s_wait_alu 0xf1ff
	v_cndmask_b32_e64 v5, 0, 1, s1
	v_cmp_lt_i32_e32 vcc_lo, 5, v29
	v_cmp_eq_u32_e64 s0, 3, v29
	v_lshrrev_b32_e32 v7, 2, v7
	v_fmac_f16_e32 v17, v72, v2
	v_mul_f64_e32 v[22:23], s[8:9], v[24:25]
	v_or_b32_e32 v5, v11, v5
	v_add_nc_u32_e32 v28, 0xfffffc10, v32
	s_or_b32 vcc_lo, s0, vcc_lo
	v_cvt_f32_f16_e32 v17, v17
	s_wait_alu 0xfffe
	v_add_co_ci_u32_e32 v7, vcc_lo, 0, v7, vcc_lo
	v_lshl_or_b32 v11, v28, 12, v1
	v_cmp_gt_i32_e32 vcc_lo, 1, v28
	v_and_or_b32 v15, 0x1ff, v16, v15
	v_cvt_f64_f32_e32 v[24:25], v17
	v_lshrrev_b32_e32 v29, 8, v16
	v_cmp_eq_u32_e64 s1, 0x40f, v33
	s_wait_alu 0xfffd
	v_cndmask_b32_e32 v5, v11, v5, vcc_lo
	v_cmp_ne_u32_e32 vcc_lo, 0, v26
	v_and_b32_e32 v11, 0xffff, v30
	v_bfe_u32 v30, v16, 20, 11
	v_mul_f16_e32 v2, v74, v2
	v_and_b32_e32 v26, 7, v5
	s_wait_alu 0xfffd
	v_cndmask_b32_e64 v17, 0, 1, vcc_lo
	v_cmp_ne_u32_e32 vcc_lo, 0, v15
	v_lshrrev_b32_e32 v5, 2, v5
	v_fma_f16 v2, v72, v31, -v2
	v_cmp_eq_u32_e64 s0, 3, v26
	v_lshl_or_b32 v17, v17, 9, 0x7c00
	s_wait_alu 0xfffd
	v_cndmask_b32_e64 v15, 0, 1, vcc_lo
	v_cmp_gt_i32_e32 vcc_lo, 31, v33
	v_cvt_f32_f16_e32 v2, v2
	v_lshl_or_b32 v11, v13, 16, v11
	s_delay_alu instid0(VALU_DEP_4)
	v_and_or_b32 v15, 0xffe, v29, v15
	s_wait_alu 0xfffd
	v_cndmask_b32_e32 v7, 0x7c00, v7, vcc_lo
	v_cmp_lt_i32_e32 vcc_lo, 5, v26
	v_sub_nc_u32_e32 v26, 0x3f1, v30
	s_wait_alu 0xf1ff
	s_delay_alu instid0(VALU_DEP_3)
	v_cndmask_b32_e64 v7, v7, v17, s1
	s_or_b32 vcc_lo, s0, vcc_lo
	v_or_b32_e32 v17, 0x1000, v15
	s_wait_alu 0xfffe
	v_add_co_ci_u32_e32 v5, vcc_lo, 0, v5, vcc_lo
	v_med3_i32 v26, v26, 0, 13
	v_cmp_ne_u32_e32 vcc_lo, 0, v1
	v_and_or_b32 v22, 0x1ff, v23, v22
	v_lshrrev_b32_e32 v32, 8, v23
	v_bfe_u32 v33, v23, 20, 11
	v_lshrrev_b32_e32 v29, v26, v17
	s_wait_alu 0xfffd
	v_cndmask_b32_e64 v1, 0, 1, vcc_lo
	v_cmp_gt_i32_e32 vcc_lo, 31, v28
	v_mul_f64_e32 v[24:25], s[8:9], v[24:25]
	v_and_or_b32 v7, 0x8000, v27, v7
	v_lshlrev_b32_e32 v26, v26, v29
	v_lshl_or_b32 v31, v1, 9, 0x7c00
	s_wait_alu 0xfffd
	v_cndmask_b32_e32 v5, 0x7c00, v5, vcc_lo
	v_cmp_ne_u32_e32 vcc_lo, 0, v22
	v_cvt_f64_f32_e32 v[1:2], v2
	v_and_b32_e32 v7, 0xffff, v7
	s_wait_alu 0xfffd
	v_cndmask_b32_e64 v22, 0, 1, vcc_lo
	v_cmp_ne_u32_e32 vcc_lo, v26, v17
	s_delay_alu instid0(VALU_DEP_2) | instskip(SKIP_4) | instid1(VALU_DEP_3)
	v_and_or_b32 v22, 0xffe, v32, v22
	s_wait_alu 0xfffd
	v_cndmask_b32_e64 v17, 0, 1, vcc_lo
	v_cmp_eq_u32_e32 vcc_lo, 0x40f, v28
	v_lshrrev_b32_e32 v28, 16, v6
	v_or_b32_e32 v13, v29, v17
	s_wait_alu 0xfffd
	v_dual_cndmask_b32 v27, v5, v31 :: v_dual_add_nc_u32 v26, 0xfffffc10, v30
	v_sub_nc_u32_e32 v30, 0x3f1, v33
	v_or_b32_e32 v29, 0x1000, v22
	s_delay_alu instid0(VALU_DEP_3) | instskip(SKIP_1) | instid1(VALU_DEP_4)
	v_lshl_or_b32 v17, v26, 12, v15
	v_cmp_gt_i32_e32 vcc_lo, 1, v26
	v_med3_i32 v30, v30, 0, 13
	v_and_or_b32 v27, 0x8000, v28, v27
	s_wait_alu 0xfffd
	v_cndmask_b32_e32 v13, v17, v13, vcc_lo
	v_add_co_u32 v5, vcc_lo, v20, s2
	v_lshrrev_b32_e32 v17, v30, v29
	s_wait_alu 0xfffd
	v_add_co_ci_u32_e32 v6, vcc_lo, s3, v21, vcc_lo
	v_and_b32_e32 v28, 7, v13
	global_store_b32 v[20:21], v9, off
	global_store_b32 v[5:6], v11, off
	v_lshrrev_b32_e32 v9, 2, v13
	v_lshlrev_b32_e32 v30, v30, v17
	v_cmp_lt_i32_e32 vcc_lo, 5, v28
	v_cmp_eq_u32_e64 s0, 3, v28
	v_mul_f64_e32 v[20:21], s[8:9], v[1:2]
	v_and_or_b32 v24, 0x1ff, v25, v24
	v_cmp_ne_u32_e64 s1, v30, v29
	v_add_nc_u32_e32 v13, 0xfffffc10, v33
	s_or_b32 vcc_lo, s0, vcc_lo
	v_lshl_or_b32 v7, v27, 16, v7
	s_wait_alu 0xfffe
	v_add_co_ci_u32_e32 v1, vcc_lo, 0, v9, vcc_lo
	v_cmp_ne_u32_e32 vcc_lo, 0, v15
	v_cndmask_b32_e64 v11, 0, 1, s1
	v_lshrrev_b32_e32 v9, 16, v12
	v_lshl_or_b32 v15, v13, 12, v22
	v_lshrrev_b32_e32 v27, 8, v25
	s_wait_alu 0xfffd
	v_cndmask_b32_e64 v2, 0, 1, vcc_lo
	v_cmp_ne_u32_e32 vcc_lo, 0, v24
	v_or_b32_e32 v11, v17, v11
	v_mul_f16_e32 v24, v71, v9
	v_bfe_u32 v28, v25, 20, 11
	v_lshl_or_b32 v29, v2, 9, 0x7c00
	s_wait_alu 0xfffd
	v_cndmask_b32_e64 v17, 0, 1, vcc_lo
	v_cmp_gt_i32_e32 vcc_lo, 1, v13
	v_fmac_f16_e32 v24, v69, v12
	v_cmp_eq_u32_e64 s1, 0x40f, v26
	v_mad_co_u64_u32 v[5:6], null, 0xfffffdf8, s4, v[5:6]
	s_wait_alu 0xfffd
	v_cndmask_b32_e32 v11, v15, v11, vcc_lo
	v_cmp_gt_i32_e32 vcc_lo, 31, v26
	v_and_or_b32 v17, 0xffe, v27, v17
	v_cvt_f32_f16_e32 v24, v24
	s_delay_alu instid0(VALU_DEP_4)
	v_and_b32_e32 v27, 7, v11
	s_wait_alu 0xfffd
	v_cndmask_b32_e32 v15, 0x7c00, v1, vcc_lo
	v_sub_nc_u32_e32 v1, 0x3f1, v28
	v_lshrrev_b32_e32 v11, 2, v11
	v_or_b32_e32 v30, 0x1000, v17
	v_cmp_lt_i32_e32 vcc_lo, 5, v27
	v_cmp_eq_u32_e64 s0, 3, v27
	v_med3_i32 v31, v1, 0, 13
	v_cvt_f64_f32_e32 v[1:2], v24
	s_wait_alu 0xf1ff
	v_cndmask_b32_e64 v26, v15, v29, s1
	v_lshrrev_b32_e32 v27, 16, v16
	s_or_b32 vcc_lo, s0, vcc_lo
	v_lshrrev_b32_e32 v24, v31, v30
	s_wait_alu 0xfffe
	v_add_co_ci_u32_e32 v11, vcc_lo, 0, v11, vcc_lo
	v_cmp_gt_i32_e32 vcc_lo, 31, v13
	v_and_or_b32 v16, 0x1ff, v21, v20
	v_lshlrev_b32_e32 v15, v31, v24
	v_add_nc_u32_e32 v6, s10, v6
	s_wait_alu 0xfffd
	v_cndmask_b32_e32 v20, 0x7c00, v11, vcc_lo
	v_cmp_ne_u32_e32 vcc_lo, 0, v22
	v_mul_f16_e32 v11, v71, v12
	v_bfe_u32 v22, v21, 20, 11
	global_store_b32 v[5:6], v7, off
	s_wait_alu 0xfffd
	v_cndmask_b32_e64 v12, 0, 1, vcc_lo
	v_cmp_ne_u32_e32 vcc_lo, v15, v30
	v_fma_f16 v9, v69, v9, -v11
	s_delay_alu instid0(VALU_DEP_3)
	v_lshl_or_b32 v29, v12, 9, 0x7c00
	s_wait_alu 0xfffd
	v_cndmask_b32_e64 v15, 0, 1, vcc_lo
	v_cmp_ne_u32_e32 vcc_lo, 0, v16
	v_lshrrev_b32_e32 v16, 8, v21
	v_cvt_f32_f16_e32 v9, v9
	s_wait_alu 0xfffd
	v_cndmask_b32_e64 v11, 0, 1, vcc_lo
	s_delay_alu instid0(VALU_DEP_1) | instskip(NEXT) | instid1(VALU_DEP_3)
	v_and_or_b32 v30, 0xffe, v16, v11
	v_cvt_f64_f32_e32 v[11:12], v9
	v_or_b32_e32 v9, v24, v15
	v_add_nc_u32_e32 v28, 0xfffffc10, v28
	v_sub_nc_u32_e32 v16, 0x3f1, v22
	v_or_b32_e32 v24, 0x1000, v30
	s_delay_alu instid0(VALU_DEP_3) | instskip(SKIP_1) | instid1(VALU_DEP_4)
	v_lshl_or_b32 v15, v28, 12, v17
	v_cmp_gt_i32_e32 vcc_lo, 1, v28
	v_med3_i32 v31, v16, 0, 13
	s_wait_alu 0xfffd
	s_delay_alu instid0(VALU_DEP_3)
	v_cndmask_b32_e32 v9, v15, v9, vcc_lo
	v_mul_f64_e32 v[15:16], s[8:9], v[1:2]
	v_cmp_eq_u32_e32 vcc_lo, 0x40f, v13
	v_lshrrev_b32_e32 v2, v31, v24
	v_lshrrev_b32_e32 v13, 16, v23
	v_and_b32_e32 v23, 7, v9
	v_lshrrev_b32_e32 v7, 2, v9
	s_wait_alu 0xfffd
	v_cndmask_b32_e32 v1, v20, v29, vcc_lo
	v_and_or_b32 v20, 0x8000, v27, v26
	v_lshlrev_b32_e32 v26, v31, v2
	v_cmp_lt_i32_e32 vcc_lo, 5, v23
	v_cmp_eq_u32_e64 s0, 3, v23
	v_and_or_b32 v1, 0x8000, v13, v1
	v_and_b32_e32 v13, 0xffff, v20
	v_lshrrev_b32_e32 v9, 16, v0
	v_cmp_ne_u32_e64 s1, v26, v24
	s_or_b32 vcc_lo, s0, vcc_lo
	v_add_nc_u32_e32 v20, 0xfffffc10, v22
	s_wait_alu 0xfffe
	v_add_co_ci_u32_e32 v7, vcc_lo, 0, v7, vcc_lo
	v_lshl_or_b32 v13, v1, 16, v13
	v_cndmask_b32_e64 v1, 0, 1, s1
	v_mul_f16_e32 v22, v70, v9
	v_cmp_ne_u32_e32 vcc_lo, 0, v17
	v_cmp_eq_u32_e64 s1, 0x40f, v28
	v_mul_f64_e32 v[11:12], s[8:9], v[11:12]
	v_or_b32_e32 v1, v2, v1
	v_lshl_or_b32 v2, v20, 12, v30
	v_fmac_f16_e32 v22, v67, v0
	s_wait_alu 0xfffd
	v_cndmask_b32_e64 v17, 0, 1, vcc_lo
	v_cmp_gt_i32_e32 vcc_lo, 1, v20
	v_mul_f16_e32 v0, v70, v0
	s_delay_alu instid0(VALU_DEP_3)
	v_lshl_or_b32 v17, v17, 9, 0x7c00
	s_wait_alu 0xfffd
	v_cndmask_b32_e32 v24, v2, v1, vcc_lo
	v_cvt_f32_f16_e32 v1, v22
	v_cmp_gt_i32_e32 vcc_lo, 31, v28
	v_fma_f16 v0, v67, v9, -v0
	v_and_or_b32 v15, 0x1ff, v16, v15
	v_and_b32_e32 v26, 7, v24
	v_cvt_f64_f32_e32 v[22:23], v1
	s_wait_alu 0xfffd
	v_cndmask_b32_e32 v7, 0x7c00, v7, vcc_lo
	v_add_co_u32 v1, vcc_lo, v5, s2
	s_wait_alu 0xfffd
	v_add_co_ci_u32_e32 v2, vcc_lo, s3, v6, vcc_lo
	s_wait_alu 0xf1ff
	v_cndmask_b32_e64 v7, v7, v17, s1
	v_cmp_ne_u32_e64 s1, 0, v15
	v_cmp_lt_i32_e32 vcc_lo, 5, v26
	v_cmp_eq_u32_e64 s0, 3, v26
	v_lshrrev_b32_e32 v15, 8, v16
	v_bfe_u32 v26, v16, 20, 11
	s_wait_alu 0xf1ff
	v_cndmask_b32_e64 v6, 0, 1, s1
	v_lshrrev_b32_e32 v5, 2, v24
	s_or_b32 vcc_lo, s0, vcc_lo
	v_cvt_f32_f16_e32 v0, v0
	v_lshrrev_b32_e32 v17, 16, v25
	v_and_or_b32 v15, 0xffe, v15, v6
	v_sub_nc_u32_e32 v6, 0x3f1, v26
	s_wait_alu 0xfffe
	v_add_co_ci_u32_e32 v5, vcc_lo, 0, v5, vcc_lo
	v_cmp_gt_i32_e32 vcc_lo, 31, v20
	v_or_b32_e32 v28, 0x1000, v15
	v_med3_i32 v24, v6, 0, 13
	v_and_or_b32 v11, 0x1ff, v12, v11
	v_and_or_b32 v17, 0x8000, v17, v7
	s_wait_alu 0xfffd
	v_cndmask_b32_e32 v27, 0x7c00, v5, vcc_lo
	v_cmp_ne_u32_e32 vcc_lo, 0, v30
	v_lshrrev_b32_e32 v29, v24, v28
	v_mad_co_u64_u32 v[5:6], null, s4, v65, 0
	v_add_nc_u32_e32 v26, 0xfffffc10, v26
	s_wait_alu 0xfffd
	v_cndmask_b32_e64 v9, 0, 1, vcc_lo
	v_lshlrev_b32_e32 v30, v24, v29
	v_cvt_f64_f32_e32 v[24:25], v0
	v_cmp_eq_u32_e32 vcc_lo, 0x40f, v20
	v_lshrrev_b32_e32 v20, 8, v12
	v_lshl_or_b32 v9, v9, 9, 0x7c00
	v_mul_f64_e32 v[22:23], s[8:9], v[22:23]
	v_dual_mov_b32 v0, v6 :: v_dual_and_b32 v17, 0xffff, v17
	global_store_b32 v[1:2], v13, off
	s_wait_alu 0xfffd
	v_cndmask_b32_e32 v9, v27, v9, vcc_lo
	v_cmp_ne_u32_e32 vcc_lo, 0, v11
	v_bfe_u32 v27, v12, 20, 11
	v_mad_co_u64_u32 v[6:7], null, s5, v65, v[0:1]
	v_lshrrev_b32_e32 v16, 16, v16
	s_wait_alu 0xfffd
	v_cndmask_b32_e64 v11, 0, 1, vcc_lo
	v_cmp_ne_u32_e32 vcc_lo, v30, v28
	v_lshl_or_b32 v28, v26, 12, v15
	s_delay_alu instid0(VALU_DEP_3)
	v_and_or_b32 v7, 0xffe, v20, v11
	v_sub_nc_u32_e32 v11, 0x3f1, v27
	s_wait_alu 0xfffd
	v_cndmask_b32_e64 v0, 0, 1, vcc_lo
	v_lshrrev_b32_e32 v20, 16, v21
	v_lshlrev_b64_e32 v[5:6], 2, v[5:6]
	v_or_b32_e32 v21, 0x1000, v7
	v_med3_i32 v11, v11, 0, 13
	v_or_b32_e32 v0, v29, v0
	v_cmp_gt_i32_e32 vcc_lo, 1, v26
	v_and_or_b32 v9, 0x8000, v20, v9
	s_delay_alu instid0(VALU_DEP_4)
	v_lshrrev_b32_e32 v20, v11, v21
	s_wait_alu 0xfffd
	v_cndmask_b32_e32 v0, v28, v0, vcc_lo
	v_add_co_u32 v5, vcc_lo, v19, v5
	v_lshl_or_b32 v9, v9, 16, v17
	v_lshlrev_b32_e32 v11, v11, v20
	v_lshrrev_b32_e32 v28, 16, v14
	s_wait_alu 0xfffd
	v_add_co_ci_u32_e32 v6, vcc_lo, v18, v6, vcc_lo
	v_mul_f64_e32 v[17:18], s[8:9], v[24:25]
	v_cmp_ne_u32_e64 s0, v11, v21
	v_mul_f16_e32 v19, v68, v28
	v_and_or_b32 v22, 0x1ff, v23, v22
	v_and_b32_e32 v13, 7, v0
	v_add_nc_u32_e32 v21, 0xfffffc10, v27
	s_wait_alu 0xf1ff
	v_cndmask_b32_e64 v11, 0, 1, s0
	v_fmac_f16_e32 v19, v66, v14
	v_cmp_ne_u32_e64 s1, 0, v22
	v_cmp_lt_i32_e32 vcc_lo, 5, v13
	v_cmp_eq_u32_e64 s0, 3, v13
	v_lshrrev_b32_e32 v0, 2, v0
	v_or_b32_e32 v11, v20, v11
	v_cvt_f32_f16_e32 v13, v19
	v_lshl_or_b32 v24, v21, 12, v7
	s_wait_alu 0xf1ff
	v_cndmask_b32_e64 v22, 0, 1, s1
	v_cmp_gt_i32_e64 s1, 1, v21
	s_or_b32 vcc_lo, s0, vcc_lo
	v_cvt_f64_f32_e32 v[19:20], v13
	s_wait_alu 0xfffe
	v_add_co_ci_u32_e32 v0, vcc_lo, 0, v0, vcc_lo
	v_cndmask_b32_e64 v11, v24, v11, s1
	v_cmp_ne_u32_e32 vcc_lo, 0, v15
	v_lshrrev_b32_e32 v25, 8, v23
	v_bfe_u32 v27, v23, 20, 11
	v_mul_f16_e32 v14, v68, v14
	v_and_b32_e32 v24, 7, v11
	s_wait_alu 0xfffd
	v_cndmask_b32_e64 v15, 0, 1, vcc_lo
	v_cmp_gt_i32_e32 vcc_lo, 31, v26
	v_and_or_b32 v22, 0xffe, v25, v22
	v_sub_nc_u32_e32 v13, 0x3f1, v27
	v_cmp_eq_u32_e64 s0, 3, v24
	v_lshrrev_b32_e32 v11, 2, v11
	s_wait_alu 0xfffd
	v_cndmask_b32_e32 v0, 0x7c00, v0, vcc_lo
	v_cmp_lt_i32_e32 vcc_lo, 5, v24
	v_or_b32_e32 v25, 0x1000, v22
	v_med3_i32 v13, v13, 0, 13
	v_fma_f16 v14, v66, v28, -v14
	v_and_or_b32 v17, 0x1ff, v18, v17
	s_or_b32 vcc_lo, s0, vcc_lo
	v_lshrrev_b32_e32 v29, 8, v18
	s_wait_alu 0xfffe
	v_add_co_ci_u32_e32 v11, vcc_lo, 0, v11, vcc_lo
	v_lshrrev_b32_e32 v24, v13, v25
	v_cmp_gt_i32_e32 vcc_lo, 31, v21
	v_cvt_f32_f16_e32 v14, v14
	v_bfe_u32 v30, v18, 20, 11
	v_lshl_or_b32 v15, v15, 9, 0x7c00
	s_wait_alu 0xfffd
	v_dual_cndmask_b32 v11, 0x7c00, v11 :: v_dual_lshlrev_b32 v28, v13, v24
	v_cmp_ne_u32_e32 vcc_lo, 0, v17
	v_cvt_f64_f32_e32 v[13:14], v14
	v_add_nc_u32_e32 v27, 0xfffffc10, v27
	global_store_b32 v[5:6], v9, off
	v_lshrrev_b32_e32 v23, 16, v23
	s_wait_alu 0xfffd
	v_cndmask_b32_e64 v17, 0, 1, vcc_lo
	v_cmp_ne_u32_e32 vcc_lo, v28, v25
	v_mul_f64_e32 v[19:20], s[8:9], v[19:20]
	v_sub_nc_u32_e32 v28, 0x3f1, v30
	v_lshrrev_b32_e32 v18, 16, v18
	v_and_or_b32 v17, 0xffe, v29, v17
	s_wait_alu 0xfffd
	v_cndmask_b32_e64 v25, 0, 1, vcc_lo
	v_cmp_ne_u32_e32 vcc_lo, 0, v7
	v_lshl_or_b32 v29, v27, 12, v22
	v_med3_i32 v28, v28, 0, 13
	s_delay_alu instid0(VALU_DEP_4) | instskip(SKIP_4) | instid1(VALU_DEP_3)
	v_or_b32_e32 v24, v24, v25
	s_wait_alu 0xfffd
	v_cndmask_b32_e64 v7, 0, 1, vcc_lo
	v_cmp_eq_u32_e32 vcc_lo, 0x40f, v26
	v_or_b32_e32 v25, 0x1000, v17
	v_lshl_or_b32 v7, v7, 9, 0x7c00
	s_wait_alu 0xfffd
	v_cndmask_b32_e32 v0, v0, v15, vcc_lo
	v_cmp_gt_i32_e32 vcc_lo, 1, v27
	v_lshrrev_b32_e32 v15, v28, v25
	s_delay_alu instid0(VALU_DEP_3)
	v_and_or_b32 v0, 0x8000, v16, v0
	s_wait_alu 0xfffd
	v_cndmask_b32_e32 v24, v29, v24, vcc_lo
	v_cmp_eq_u32_e32 vcc_lo, 0x40f, v21
	v_lshlrev_b32_e32 v21, v28, v15
	v_add_nc_u32_e32 v16, 0xfffffc10, v30
	s_delay_alu instid0(VALU_DEP_4)
	v_lshrrev_b32_e32 v9, 2, v24
	s_wait_alu 0xfffd
	v_cndmask_b32_e32 v7, v11, v7, vcc_lo
	v_lshrrev_b32_e32 v11, 16, v12
	v_and_b32_e32 v12, 7, v24
	v_cmp_ne_u32_e64 s1, v21, v25
	v_mul_f64_e32 v[5:6], s[8:9], v[13:14]
	v_lshrrev_b32_e32 v13, 16, v3
	v_and_or_b32 v7, 0x8000, v11, v7
	v_cmp_lt_i32_e32 vcc_lo, 5, v12
	v_cmp_eq_u32_e64 s0, 3, v12
	s_wait_alu 0xf1ff
	v_cndmask_b32_e64 v11, 0, 1, s1
	v_lshl_or_b32 v12, v16, 12, v17
	v_and_or_b32 v14, 0x1ff, v20, v19
	v_mul_f16_e32 v19, v64, v13
	s_or_b32 vcc_lo, s0, vcc_lo
	v_or_b32_e32 v11, v15, v11
	s_wait_alu 0xfffe
	v_add_co_ci_u32_e32 v9, vcc_lo, 0, v9, vcc_lo
	v_cmp_ne_u32_e32 vcc_lo, 0, v22
	v_fmac_f16_e32 v19, v63, v3
	v_cmp_eq_u32_e64 s1, 0x40f, v27
	v_bfe_u32 v22, v20, 20, 11
	v_mul_f16_e32 v3, v64, v3
	s_wait_alu 0xfffd
	v_cndmask_b32_e64 v15, 0, 1, vcc_lo
	v_cmp_gt_i32_e32 vcc_lo, 1, v16
	v_cvt_f32_f16_e32 v19, v19
	v_fma_f16 v3, v63, v13, -v3
	s_delay_alu instid0(VALU_DEP_4) | instskip(SKIP_4) | instid1(VALU_DEP_3)
	v_lshl_or_b32 v15, v15, 9, 0x7c00
	s_wait_alu 0xfffd
	v_cndmask_b32_e32 v21, v12, v11, vcc_lo
	v_cmp_gt_i32_e32 vcc_lo, 31, v27
	v_cvt_f32_f16_e32 v3, v3
	v_and_b32_e32 v11, 7, v21
	s_wait_alu 0xfffd
	v_cndmask_b32_e32 v9, 0x7c00, v9, vcc_lo
	v_cmp_ne_u32_e32 vcc_lo, 0, v14
	v_lshrrev_b32_e32 v14, 8, v20
	v_lshrrev_b32_e32 v20, 16, v20
	v_cmp_eq_u32_e64 s0, 3, v11
	s_wait_alu 0xf1ff
	v_cndmask_b32_e64 v9, v9, v15, s1
	s_wait_alu 0xfffd
	v_cndmask_b32_e64 v12, 0, 1, vcc_lo
	v_cmp_lt_i32_e32 vcc_lo, 5, v11
	v_lshrrev_b32_e32 v15, 2, v21
	v_and_or_b32 v5, 0x1ff, v6, v5
	v_lshrrev_b32_e32 v26, 8, v6
	v_and_or_b32 v24, 0xffe, v14, v12
	v_cvt_f64_f32_e32 v[11:12], v19
	v_sub_nc_u32_e32 v14, 0x3f1, v22
	s_or_b32 vcc_lo, s0, vcc_lo
	v_bfe_u32 v27, v6, 20, 11
	s_wait_alu 0xfffe
	v_add_co_ci_u32_e32 v15, vcc_lo, 0, v15, vcc_lo
	v_or_b32_e32 v19, 0x1000, v24
	v_med3_i32 v14, v14, 0, 13
	v_cmp_ne_u32_e32 vcc_lo, 0, v17
	v_and_or_b32 v9, 0x8000, v23, v9
	v_lshrrev_b32_e32 v6, 16, v6
	s_delay_alu instid0(VALU_DEP_4) | instskip(SKIP_3) | instid1(VALU_DEP_3)
	v_lshrrev_b32_e32 v21, v14, v19
	s_wait_alu 0xfffd
	v_cndmask_b32_e64 v17, 0, 1, vcc_lo
	v_cmp_gt_i32_e32 vcc_lo, 31, v16
	v_lshlrev_b32_e32 v25, v14, v21
	v_cvt_f64_f32_e32 v[13:14], v3
	s_wait_alu 0xfffd
	v_cndmask_b32_e32 v15, 0x7c00, v15, vcc_lo
	v_cmp_ne_u32_e32 vcc_lo, 0, v5
	v_lshl_or_b32 v17, v17, 9, 0x7c00
	s_wait_alu 0xfffd
	v_cndmask_b32_e64 v5, 0, 1, vcc_lo
	v_cmp_ne_u32_e32 vcc_lo, v25, v19
	v_add_nc_u32_e32 v19, 0xfffffc10, v22
	v_sub_nc_u32_e32 v22, 0x3f1, v27
	s_delay_alu instid0(VALU_DEP_4) | instskip(SKIP_4) | instid1(VALU_DEP_3)
	v_and_or_b32 v5, 0xffe, v26, v5
	s_wait_alu 0xfffd
	v_cndmask_b32_e64 v3, 0, 1, vcc_lo
	v_cmp_eq_u32_e32 vcc_lo, 0x40f, v16
	v_lshl_or_b32 v16, v19, 12, v24
	v_or_b32_e32 v3, v21, v3
	s_wait_alu 0xfffd
	v_cndmask_b32_e32 v15, v15, v17, vcc_lo
	v_or_b32_e32 v17, 0x1000, v5
	v_med3_i32 v21, v22, 0, 13
	v_mul_f64_e32 v[11:12], s[8:9], v[11:12]
	v_cmp_gt_i32_e32 vcc_lo, 1, v19
	v_and_b32_e32 v0, 0xffff, v0
	s_delay_alu instid0(VALU_DEP_4) | instskip(SKIP_2) | instid1(VALU_DEP_3)
	v_lshrrev_b32_e32 v22, v21, v17
	s_wait_alu 0xfffd
	v_cndmask_b32_e32 v3, v16, v3, vcc_lo
	v_lshl_or_b32 v23, v7, 16, v0
	v_and_or_b32 v0, 0x8000, v18, v15
	v_lshlrev_b32_e32 v18, v21, v22
	v_lshrrev_b32_e32 v21, 16, v8
	v_add_co_u32 v15, vcc_lo, v1, s6
	v_and_b32_e32 v7, 0xffff, v9
	v_and_b32_e32 v9, 7, v3
	s_delay_alu instid0(VALU_DEP_4)
	v_mul_f16_e32 v1, v62, v21
	v_cmp_ne_u32_e64 s1, v18, v17
	s_wait_alu 0xfffd
	v_add_co_ci_u32_e32 v16, vcc_lo, s7, v2, vcc_lo
	v_cmp_lt_i32_e32 vcc_lo, 5, v9
	v_fmac_f16_e32 v1, v61, v8
	v_cmp_eq_u32_e64 s0, 3, v9
	v_lshrrev_b32_e32 v2, 2, v3
	s_wait_alu 0xf1ff
	v_cndmask_b32_e64 v3, 0, 1, s1
	v_add_nc_u32_e32 v9, 0xfffffc10, v27
	v_cvt_f32_f16_e32 v1, v1
	s_or_b32 vcc_lo, s0, vcc_lo
	v_lshl_or_b32 v25, v0, 16, v7
	s_wait_alu 0xfffe
	v_add_co_ci_u32_e32 v17, vcc_lo, 0, v2, vcc_lo
	v_or_b32_e32 v18, v22, v3
	v_mul_f64_e32 v[2:3], s[8:9], v[13:14]
	v_cmp_ne_u32_e32 vcc_lo, 0, v24
	v_cvt_f64_f32_e32 v[13:14], v1
	v_lshl_or_b32 v22, v9, 12, v5
	v_cmp_eq_u32_e64 s1, 0x40f, v19
	v_mul_f16_e32 v8, v62, v8
	s_wait_alu 0xfffd
	v_cndmask_b32_e64 v0, 0, 1, vcc_lo
	v_cmp_gt_i32_e32 vcc_lo, 1, v9
	v_and_or_b32 v11, 0x1ff, v12, v11
	v_lshrrev_b32_e32 v24, 8, v12
	v_bfe_u32 v26, v12, 20, 11
	v_fma_f16 v21, v61, v21, -v8
	s_wait_alu 0xfffd
	v_cndmask_b32_e32 v7, v22, v18, vcc_lo
	v_cmp_gt_i32_e32 vcc_lo, 31, v19
	v_cmp_ne_u32_e64 s0, 0, v11
	v_lshl_or_b32 v18, v0, 9, 0x7c00
	v_lshrrev_b32_e32 v12, 16, v12
	s_wait_alu 0xfffd
	v_dual_cndmask_b32 v17, 0x7c00, v17 :: v_dual_and_b32 v22, 7, v7
	v_add_co_u32 v0, vcc_lo, v15, s2
	s_wait_alu 0xfffd
	v_add_co_ci_u32_e32 v1, vcc_lo, s3, v16, vcc_lo
	s_delay_alu instid0(VALU_DEP_3)
	v_cmp_lt_i32_e32 vcc_lo, 5, v22
	s_wait_alu 0xf1ff
	v_cndmask_b32_e64 v11, 0, 1, s0
	v_cmp_eq_u32_e64 s0, 3, v22
	v_lshrrev_b32_e32 v7, 2, v7
	v_cndmask_b32_e64 v17, v17, v18, s1
	v_sub_nc_u32_e32 v18, 0x3f1, v26
	v_and_or_b32 v11, 0xffe, v24, v11
	s_or_b32 vcc_lo, s0, vcc_lo
	global_store_b32 v[15:16], v23, off
	global_store_b32 v[0:1], v25, off
	s_wait_alu 0xfffe
	v_add_co_ci_u32_e32 v7, vcc_lo, 0, v7, vcc_lo
	v_cmp_ne_u32_e32 vcc_lo, 0, v5
	v_or_b32_e32 v19, 0x1000, v11
	v_med3_i32 v18, v18, 0, 13
	v_and_or_b32 v17, 0x8000, v20, v17
	v_and_or_b32 v2, 0x1ff, v3, v2
	s_wait_alu 0xfffd
	v_cndmask_b32_e64 v5, 0, 1, vcc_lo
	v_cmp_gt_i32_e32 vcc_lo, 31, v9
	v_lshrrev_b32_e32 v22, v18, v19
	v_bfe_u32 v27, v3, 20, 11
	s_delay_alu instid0(VALU_DEP_4)
	v_lshl_or_b32 v5, v5, 9, 0x7c00
	s_wait_alu 0xfffd
	v_cndmask_b32_e32 v24, 0x7c00, v7, vcc_lo
	v_mul_f64_e32 v[7:8], s[8:9], v[13:14]
	v_cmp_ne_u32_e32 vcc_lo, 0, v2
	v_lshlrev_b32_e32 v18, v18, v22
	v_cvt_f32_f16_e32 v13, v21
	v_lshrrev_b32_e32 v21, 8, v3
	v_add_nc_u32_e32 v16, 0xfffffc10, v27
	s_wait_alu 0xfffd
	v_cndmask_b32_e64 v2, 0, 1, vcc_lo
	v_cmp_eq_u32_e32 vcc_lo, 0x40f, v9
	v_cvt_f64_f32_e32 v[13:14], v13
	v_lshrrev_b32_e32 v3, 16, v3
	s_delay_alu instid0(VALU_DEP_4)
	v_and_or_b32 v9, 0xffe, v21, v2
	s_wait_alu 0xfffd
	v_cndmask_b32_e32 v5, v24, v5, vcc_lo
	v_sub_nc_u32_e32 v2, 0x3f1, v27
	v_cmp_ne_u32_e32 vcc_lo, v18, v19
	v_add_nc_u32_e32 v19, 0xfffffc10, v26
	v_or_b32_e32 v21, 0x1000, v9
	v_lshrrev_b32_e32 v24, 16, v4
	v_med3_i32 v2, v2, 0, 13
	s_wait_alu 0xfffd
	v_cndmask_b32_e64 v18, 0, 1, vcc_lo
	v_cmp_gt_i32_e32 vcc_lo, 1, v19
	v_and_or_b32 v5, 0x8000, v6, v5
	v_mul_f16_e32 v20, v60, v24
	v_lshrrev_b32_e32 v26, v2, v21
	v_or_b32_e32 v18, v22, v18
	v_lshl_or_b32 v22, v19, 12, v11
	s_delay_alu instid0(VALU_DEP_4) | instskip(NEXT) | instid1(VALU_DEP_4)
	v_fmac_f16_e32 v20, v58, v4
	v_lshlrev_b32_e32 v6, v2, v26
	v_and_b32_e32 v2, 0xffff, v17
	s_wait_alu 0xfffd
	v_cndmask_b32_e32 v18, v22, v18, vcc_lo
	v_mul_f16_e32 v4, v60, v4
	v_cmp_ne_u32_e64 s0, v6, v21
	v_lshl_or_b32 v2, v5, 16, v2
	s_delay_alu instid0(VALU_DEP_4)
	v_and_b32_e32 v17, 7, v18
	v_cvt_f32_f16_e32 v5, v20
	v_fma_f16 v4, v58, v24, -v4
	v_and_or_b32 v7, 0x1ff, v8, v7
	s_wait_alu 0xf1ff
	v_cndmask_b32_e64 v15, 0, 1, s0
	v_cmp_lt_i32_e32 vcc_lo, 5, v17
	v_cmp_eq_u32_e64 s0, 3, v17
	v_lshrrev_b32_e32 v17, 2, v18
	v_cmp_ne_u32_e64 s1, 0, v7
	v_cvt_f64_f32_e32 v[5:6], v5
	v_or_b32_e32 v15, v26, v15
	s_or_b32 vcc_lo, s0, vcc_lo
	v_lshl_or_b32 v18, v16, 12, v9
	s_wait_alu 0xfffe
	v_add_co_ci_u32_e32 v17, vcc_lo, 0, v17, vcc_lo
	v_cndmask_b32_e64 v7, 0, 1, s1
	v_lshrrev_b32_e32 v20, 8, v8
	v_bfe_u32 v21, v8, 20, 11
	v_cmp_gt_i32_e32 vcc_lo, 1, v16
	v_mul_f64_e32 v[13:14], s[8:9], v[13:14]
	v_cmp_eq_u32_e64 s1, 0x40f, v19
	v_and_or_b32 v7, 0xffe, v20, v7
	v_cvt_f32_f16_e32 v4, v4
	s_wait_alu 0xfffd
	v_cndmask_b32_e32 v15, v18, v15, vcc_lo
	v_sub_nc_u32_e32 v18, 0x3f1, v21
	v_cmp_ne_u32_e32 vcc_lo, 0, v11
	v_or_b32_e32 v22, 0x1000, v7
	s_delay_alu instid0(VALU_DEP_3) | instskip(SKIP_3) | instid1(VALU_DEP_3)
	v_med3_i32 v18, v18, 0, 13
	s_wait_alu 0xfffd
	v_cndmask_b32_e64 v11, 0, 1, vcc_lo
	v_cmp_gt_i32_e32 vcc_lo, 31, v19
	v_lshrrev_b32_e32 v23, v18, v22
	s_delay_alu instid0(VALU_DEP_3) | instskip(SKIP_3) | instid1(VALU_DEP_1)
	v_lshl_or_b32 v11, v11, 9, 0x7c00
	s_wait_alu 0xfffd
	v_cndmask_b32_e32 v17, 0x7c00, v17, vcc_lo
	s_wait_alu 0xf1ff
	v_cndmask_b32_e64 v11, v17, v11, s1
	v_lshlrev_b32_e32 v17, v18, v23
	v_add_nc_u32_e32 v18, 0xfffffc10, v21
	v_and_b32_e32 v20, 7, v15
	v_lshrrev_b32_e32 v15, 2, v15
	v_mul_f64_e32 v[5:6], s[8:9], v[5:6]
	s_delay_alu instid0(VALU_DEP_4) | instskip(NEXT) | instid1(VALU_DEP_4)
	v_lshl_or_b32 v19, v18, 12, v7
	v_cmp_lt_i32_e32 vcc_lo, 5, v20
	v_cmp_eq_u32_e64 s0, 3, v20
	v_and_or_b32 v20, 0x8000, v12, v11
	v_cvt_f64_f32_e32 v[11:12], v4
	s_delay_alu instid0(VALU_DEP_3)
	s_or_b32 vcc_lo, s0, vcc_lo
	s_wait_alu 0xfffe
	v_add_co_ci_u32_e32 v15, vcc_lo, 0, v15, vcc_lo
	v_cmp_ne_u32_e32 vcc_lo, 0, v9
	v_and_or_b32 v13, 0x1ff, v14, v13
	v_bfe_u32 v21, v14, 20, 11
	s_wait_alu 0xfffd
	v_cndmask_b32_e64 v9, 0, 1, vcc_lo
	v_cmp_ne_u32_e32 vcc_lo, v17, v22
	v_lshrrev_b32_e32 v22, 16, v10
	s_delay_alu instid0(VALU_DEP_3) | instskip(SKIP_3) | instid1(VALU_DEP_2)
	v_lshl_or_b32 v9, v9, 9, 0x7c00
	s_wait_alu 0xfffd
	v_cndmask_b32_e64 v17, 0, 1, vcc_lo
	v_cmp_gt_i32_e32 vcc_lo, 31, v16
	v_or_b32_e32 v17, v23, v17
	s_wait_alu 0xfffd
	v_cndmask_b32_e32 v15, 0x7c00, v15, vcc_lo
	v_cmp_gt_i32_e32 vcc_lo, 1, v18
	s_wait_alu 0xfffd
	v_cndmask_b32_e32 v17, v19, v17, vcc_lo
	v_cmp_ne_u32_e32 vcc_lo, 0, v13
	v_lshrrev_b32_e32 v19, 8, v14
	v_and_or_b32 v5, 0x1ff, v6, v5
	v_lshrrev_b32_e32 v14, 16, v14
	s_wait_alu 0xfffd
	v_cndmask_b32_e64 v13, 0, 1, vcc_lo
	v_cmp_eq_u32_e32 vcc_lo, 0x40f, v16
	v_mul_f16_e32 v16, v59, v22
	s_delay_alu instid0(VALU_DEP_3)
	v_and_or_b32 v13, 0xffe, v19, v13
	s_wait_alu 0xfffd
	v_cndmask_b32_e32 v4, v15, v9, vcc_lo
	v_and_b32_e32 v9, 7, v17
	v_fmac_f16_e32 v16, v57, v10
	v_sub_nc_u32_e32 v15, 0x3f1, v21
	v_or_b32_e32 v19, 0x1000, v13
	v_and_or_b32 v23, 0x8000, v3, v4
	v_cmp_lt_i32_e32 vcc_lo, 5, v9
	v_cmp_eq_u32_e64 s0, 3, v9
	v_lshrrev_b32_e32 v3, 2, v17
	v_cvt_f32_f16_e32 v4, v16
	v_med3_i32 v15, v15, 0, 13
	v_mul_f16_e32 v10, v59, v10
	s_or_b32 vcc_lo, s0, vcc_lo
	v_add_nc_u32_e32 v21, 0xfffffc10, v21
	s_wait_alu 0xfffe
	v_add_co_ci_u32_e32 v16, vcc_lo, 0, v3, vcc_lo
	v_cmp_ne_u32_e32 vcc_lo, 0, v7
	v_lshrrev_b32_e32 v17, v15, v19
	v_cvt_f64_f32_e32 v[3:4], v4
	v_fma_f16 v10, v57, v22, -v10
	v_bfe_u32 v22, v6, 20, 11
	s_wait_alu 0xfffd
	v_cndmask_b32_e64 v7, 0, 1, vcc_lo
	v_cmp_ne_u32_e32 vcc_lo, 0, v5
	v_lshlrev_b32_e32 v9, v15, v17
	v_lshrrev_b32_e32 v15, 8, v6
	v_sub_nc_u32_e32 v24, 0x3f1, v22
	v_lshl_or_b32 v7, v7, 9, 0x7c00
	s_wait_alu 0xfffd
	v_cndmask_b32_e64 v5, 0, 1, vcc_lo
	v_cmp_ne_u32_e32 vcc_lo, v9, v19
	v_lshrrev_b32_e32 v6, 16, v6
	v_med3_i32 v24, v24, 0, 13
	s_delay_alu instid0(VALU_DEP_4)
	v_and_or_b32 v5, 0xffe, v15, v5
	v_cvt_f32_f16_e32 v15, v10
	s_wait_alu 0xfffd
	v_cndmask_b32_e64 v19, 0, 1, vcc_lo
	v_mul_f64_e32 v[9:10], s[8:9], v[11:12]
	v_cmp_gt_i32_e32 vcc_lo, 31, v18
	v_cvt_f64_f32_e32 v[11:12], v15
	s_delay_alu instid0(VALU_DEP_4)
	v_or_b32_e32 v17, v17, v19
	v_lshl_or_b32 v19, v21, 12, v13
	v_or_b32_e32 v15, 0x1000, v5
	s_wait_alu 0xfffd
	v_cndmask_b32_e32 v16, 0x7c00, v16, vcc_lo
	v_cmp_gt_i32_e32 vcc_lo, 1, v21
	s_delay_alu instid0(VALU_DEP_3)
	v_lshrrev_b32_e32 v25, v24, v15
	s_wait_alu 0xfffd
	v_cndmask_b32_e32 v17, v19, v17, vcc_lo
	v_add_co_u32 v0, vcc_lo, v0, s2
	s_wait_alu 0xfffd
	v_add_co_ci_u32_e32 v1, vcc_lo, s3, v1, vcc_lo
	v_lshlrev_b32_e32 v19, v24, v25
	v_and_b32_e32 v24, 7, v17
	v_cmp_eq_u32_e32 vcc_lo, 0x40f, v18
	v_mul_f64_e32 v[3:4], s[8:9], v[3:4]
	v_lshrrev_b32_e32 v18, 16, v8
	v_cmp_ne_u32_e64 s1, v19, v15
	v_cmp_eq_u32_e64 s0, 3, v24
	s_wait_alu 0xfffd
	v_cndmask_b32_e32 v16, v16, v7, vcc_lo
	v_cmp_lt_i32_e32 vcc_lo, 5, v24
	v_lshrrev_b32_e32 v7, 2, v17
	s_wait_alu 0xf1ff
	v_cndmask_b32_e64 v8, 0, 1, s1
	v_add_nc_u32_e32 v15, 0xfffffc10, v22
	v_and_or_b32 v16, 0x8000, v18, v16
	s_or_b32 vcc_lo, s0, vcc_lo
	s_wait_alu 0xfffe
	v_add_co_ci_u32_e32 v7, vcc_lo, 0, v7, vcc_lo
	v_cmp_ne_u32_e32 vcc_lo, 0, v13
	v_or_b32_e32 v17, v25, v8
	v_lshl_or_b32 v19, v15, 12, v5
	v_and_or_b32 v9, 0x1ff, v10, v9
	s_wait_alu 0xfffd
	v_cndmask_b32_e64 v13, 0, 1, vcc_lo
	v_cmp_gt_i32_e32 vcc_lo, 31, v21
	s_delay_alu instid0(VALU_DEP_2)
	v_lshl_or_b32 v13, v13, 9, 0x7c00
	s_wait_alu 0xfffd
	v_cndmask_b32_e32 v22, 0x7c00, v7, vcc_lo
	v_mul_f64_e32 v[7:8], s[8:9], v[11:12]
	v_add_co_u32 v11, vcc_lo, v0, s2
	s_wait_alu 0xfffd
	v_add_co_ci_u32_e32 v12, vcc_lo, s3, v1, vcc_lo
	v_cmp_gt_i32_e32 vcc_lo, 1, v15
	s_wait_alu 0xfffd
	v_cndmask_b32_e32 v17, v19, v17, vcc_lo
	v_cmp_ne_u32_e32 vcc_lo, 0, v9
	v_lshrrev_b32_e32 v19, 8, v10
	v_and_or_b32 v3, 0x1ff, v4, v3
	s_wait_alu 0xfffd
	v_cndmask_b32_e64 v9, 0, 1, vcc_lo
	v_cmp_eq_u32_e32 vcc_lo, 0x40f, v21
	v_and_b32_e32 v20, 0xffff, v20
	v_and_b32_e32 v21, 7, v17
	v_lshrrev_b32_e32 v17, 2, v17
	v_and_or_b32 v9, 0xffe, v19, v9
	s_wait_alu 0xfffd
	v_cndmask_b32_e32 v13, v22, v13, vcc_lo
	v_lshl_or_b32 v20, v23, 16, v20
	v_bfe_u32 v23, v10, 20, 11
	v_cmp_lt_i32_e32 vcc_lo, 5, v21
	v_cmp_eq_u32_e64 s0, 3, v21
	v_and_or_b32 v13, 0x8000, v14, v13
	v_or_b32_e32 v14, 0x1000, v9
	v_sub_nc_u32_e32 v19, 0x3f1, v23
	v_lshrrev_b32_e32 v21, 8, v4
	s_or_b32 vcc_lo, s0, vcc_lo
	v_bfe_u32 v22, v4, 20, 11
	s_wait_alu 0xfffe
	v_add_co_ci_u32_e32 v17, vcc_lo, 0, v17, vcc_lo
	v_med3_i32 v18, v19, 0, 13
	v_cmp_ne_u32_e32 vcc_lo, 0, v3
	v_lshrrev_b32_e32 v10, 16, v10
	v_and_or_b32 v7, 0x1ff, v8, v7
	v_lshrrev_b32_e32 v24, 8, v8
	v_lshrrev_b32_e32 v19, v18, v14
	s_wait_alu 0xfffd
	v_cndmask_b32_e64 v3, 0, 1, vcc_lo
	v_cmp_ne_u32_e32 vcc_lo, 0, v5
	v_bfe_u32 v25, v8, 20, 11
	v_lshrrev_b32_e32 v4, 16, v4
	v_lshlrev_b32_e32 v18, v18, v19
	v_and_or_b32 v3, 0xffe, v21, v3
	s_wait_alu 0xfffd
	v_cndmask_b32_e64 v5, 0, 1, vcc_lo
	v_sub_nc_u32_e32 v21, 0x3f1, v22
	v_cmp_ne_u32_e32 vcc_lo, v18, v14
	v_add_nc_u32_e32 v18, 0xfffffc10, v23
	v_or_b32_e32 v23, 0x1000, v3
	s_delay_alu instid0(VALU_DEP_4)
	v_med3_i32 v21, v21, 0, 13
	v_lshl_or_b32 v5, v5, 9, 0x7c00
	s_wait_alu 0xfffd
	v_cndmask_b32_e64 v14, 0, 1, vcc_lo
	v_cmp_gt_i32_e32 vcc_lo, 31, v15
	v_lshrrev_b32_e32 v26, v21, v23
	s_delay_alu instid0(VALU_DEP_3)
	v_or_b32_e32 v14, v19, v14
	s_wait_alu 0xfffd
	v_cndmask_b32_e32 v17, 0x7c00, v17, vcc_lo
	v_cmp_ne_u32_e32 vcc_lo, 0, v7
	v_lshl_or_b32 v19, v18, 12, v9
	s_wait_alu 0xfffd
	v_cndmask_b32_e64 v7, 0, 1, vcc_lo
	v_cmp_gt_i32_e32 vcc_lo, 1, v18
	s_delay_alu instid0(VALU_DEP_2)
	v_and_or_b32 v7, 0xffe, v24, v7
	v_sub_nc_u32_e32 v24, 0x3f1, v25
	s_wait_alu 0xfffd
	v_cndmask_b32_e32 v14, v19, v14, vcc_lo
	v_lshlrev_b32_e32 v19, v21, v26
	v_cmp_eq_u32_e32 vcc_lo, 0x40f, v15
	v_and_b32_e32 v16, 0xffff, v16
	v_or_b32_e32 v21, 0x1000, v7
	v_med3_i32 v24, v24, 0, 13
	v_and_b32_e32 v27, 7, v14
	s_wait_alu 0xfffd
	v_cndmask_b32_e32 v5, v17, v5, vcc_lo
	v_cmp_ne_u32_e32 vcc_lo, v19, v23
	v_add_nc_u32_e32 v17, 0xfffffc10, v22
	v_lshrrev_b32_e32 v19, v24, v21
	v_cmp_eq_u32_e64 s0, 3, v27
	v_lshrrev_b32_e32 v14, 2, v14
	s_wait_alu 0xfffd
	v_cndmask_b32_e64 v15, 0, 1, vcc_lo
	v_lshl_or_b32 v22, v17, 12, v3
	v_lshlrev_b32_e32 v23, v24, v19
	v_cmp_gt_i32_e64 s1, 1, v17
	v_cmp_lt_i32_e32 vcc_lo, 5, v27
	v_or_b32_e32 v15, v26, v15
	v_and_or_b32 v5, 0x8000, v6, v5
	v_lshl_or_b32 v13, v13, 16, v16
	s_or_b32 vcc_lo, s0, vcc_lo
	s_delay_alu instid0(VALU_DEP_3)
	v_cndmask_b32_e64 v15, v22, v15, s1
	v_cmp_ne_u32_e64 s1, v23, v21
	v_add_nc_u32_e32 v22, 0xfffffc10, v25
	s_wait_alu 0xfffe
	v_add_co_ci_u32_e32 v14, vcc_lo, 0, v14, vcc_lo
	v_and_b32_e32 v23, 7, v15
	s_wait_alu 0xf1ff
	v_cndmask_b32_e64 v21, 0, 1, s1
	v_cmp_ne_u32_e32 vcc_lo, 0, v9
	v_cmp_gt_i32_e64 s0, 1, v22
	v_lshrrev_b32_e32 v15, 2, v15
	v_cmp_gt_i32_e64 s1, 31, v18
	v_or_b32_e32 v19, v19, v21
	v_lshl_or_b32 v21, v22, 12, v7
	s_wait_alu 0xfffd
	v_cndmask_b32_e64 v9, 0, 1, vcc_lo
	v_cmp_lt_i32_e32 vcc_lo, 5, v23
	s_wait_alu 0xf1ff
	v_cndmask_b32_e64 v14, 0x7c00, v14, s1
	v_cmp_eq_u32_e64 s1, 0x40f, v18
	v_cndmask_b32_e64 v6, v21, v19, s0
	v_cmp_eq_u32_e64 s0, 3, v23
	v_lshl_or_b32 v9, v9, 9, 0x7c00
	v_and_b32_e32 v5, 0xffff, v5
	s_delay_alu instid0(VALU_DEP_4) | instskip(NEXT) | instid1(VALU_DEP_4)
	v_and_b32_e32 v19, 7, v6
	s_or_b32 vcc_lo, s0, vcc_lo
	v_lshrrev_b32_e32 v6, 2, v6
	s_wait_alu 0xfffe
	v_add_co_ci_u32_e32 v15, vcc_lo, 0, v15, vcc_lo
	v_cmp_ne_u32_e32 vcc_lo, 0, v3
	v_cmp_eq_u32_e64 s0, 3, v19
	v_cndmask_b32_e64 v9, v14, v9, s1
	v_cmp_gt_i32_e64 s1, 31, v17
	s_wait_alu 0xfffd
	v_cndmask_b32_e64 v3, 0, 1, vcc_lo
	v_cmp_lt_i32_e32 vcc_lo, 5, v19
	v_and_or_b32 v9, 0x8000, v10, v9
	s_wait_alu 0xf1ff
	v_cndmask_b32_e64 v14, 0x7c00, v15, s1
	v_lshl_or_b32 v3, v3, 9, 0x7c00
	s_or_b32 vcc_lo, s0, vcc_lo
	v_lshl_or_b32 v9, v9, 16, v5
	s_wait_alu 0xfffe
	v_add_co_ci_u32_e32 v6, vcc_lo, 0, v6, vcc_lo
	v_cmp_ne_u32_e32 vcc_lo, 0, v7
	s_wait_alu 0xfffd
	v_cndmask_b32_e64 v7, 0, 1, vcc_lo
	v_cmp_eq_u32_e32 vcc_lo, 0x40f, v17
	s_delay_alu instid0(VALU_DEP_2) | instskip(SKIP_3) | instid1(VALU_DEP_2)
	v_lshl_or_b32 v7, v7, 9, 0x7c00
	s_wait_alu 0xfffd
	v_cndmask_b32_e32 v3, v14, v3, vcc_lo
	v_cmp_gt_i32_e32 vcc_lo, 31, v22
	v_and_or_b32 v10, 0x8000, v4, v3
	s_wait_alu 0xfffd
	v_cndmask_b32_e32 v6, 0x7c00, v6, vcc_lo
	v_cmp_eq_u32_e32 vcc_lo, 0x40f, v22
	s_wait_alu 0xfffd
	s_delay_alu instid0(VALU_DEP_2) | instskip(SKIP_4) | instid1(VALU_DEP_3)
	v_cndmask_b32_e32 v6, v6, v7, vcc_lo
	v_lshrrev_b32_e32 v7, 16, v8
	v_add_co_u32 v3, vcc_lo, v11, s2
	s_wait_alu 0xfffd
	v_add_co_ci_u32_e32 v4, vcc_lo, s3, v12, vcc_lo
	v_and_or_b32 v7, 0x8000, v7, v6
	v_and_b32_e32 v8, 0xffff, v10
	v_add_co_u32 v5, vcc_lo, v3, s2
	s_wait_alu 0xfffd
	v_add_co_ci_u32_e32 v6, vcc_lo, s3, v4, vcc_lo
	s_delay_alu instid0(VALU_DEP_3) | instskip(NEXT) | instid1(VALU_DEP_3)
	v_lshl_or_b32 v10, v7, 16, v8
	v_add_co_u32 v7, vcc_lo, v5, s2
	s_wait_alu 0xfffd
	s_delay_alu instid0(VALU_DEP_3)
	v_add_co_ci_u32_e32 v8, vcc_lo, s3, v6, vcc_lo
	global_store_b32 v[0:1], v2, off
	global_store_b32 v[11:12], v20, off
	;; [unrolled: 1-line block ×5, first 2 shown]
.LBB0_2:
	s_nop 0
	s_sendmsg sendmsg(MSG_DEALLOC_VGPRS)
	s_endpgm
	.section	.rodata,"a",@progbits
	.p2align	6, 0x0
	.amdhsa_kernel bluestein_single_fwd_len150_dim1_half_op_CI_CI
		.amdhsa_group_segment_fixed_size 7200
		.amdhsa_private_segment_fixed_size 0
		.amdhsa_kernarg_size 104
		.amdhsa_user_sgpr_count 2
		.amdhsa_user_sgpr_dispatch_ptr 0
		.amdhsa_user_sgpr_queue_ptr 0
		.amdhsa_user_sgpr_kernarg_segment_ptr 1
		.amdhsa_user_sgpr_dispatch_id 0
		.amdhsa_user_sgpr_private_segment_size 0
		.amdhsa_wavefront_size32 1
		.amdhsa_uses_dynamic_stack 0
		.amdhsa_enable_private_segment 0
		.amdhsa_system_sgpr_workgroup_id_x 1
		.amdhsa_system_sgpr_workgroup_id_y 0
		.amdhsa_system_sgpr_workgroup_id_z 0
		.amdhsa_system_sgpr_workgroup_info 0
		.amdhsa_system_vgpr_workitem_id 0
		.amdhsa_next_free_vgpr 203
		.amdhsa_next_free_sgpr 20
		.amdhsa_reserve_vcc 1
		.amdhsa_float_round_mode_32 0
		.amdhsa_float_round_mode_16_64 0
		.amdhsa_float_denorm_mode_32 3
		.amdhsa_float_denorm_mode_16_64 3
		.amdhsa_fp16_overflow 0
		.amdhsa_workgroup_processor_mode 1
		.amdhsa_memory_ordered 1
		.amdhsa_forward_progress 0
		.amdhsa_round_robin_scheduling 0
		.amdhsa_exception_fp_ieee_invalid_op 0
		.amdhsa_exception_fp_denorm_src 0
		.amdhsa_exception_fp_ieee_div_zero 0
		.amdhsa_exception_fp_ieee_overflow 0
		.amdhsa_exception_fp_ieee_underflow 0
		.amdhsa_exception_fp_ieee_inexact 0
		.amdhsa_exception_int_div_zero 0
	.end_amdhsa_kernel
	.text
.Lfunc_end0:
	.size	bluestein_single_fwd_len150_dim1_half_op_CI_CI, .Lfunc_end0-bluestein_single_fwd_len150_dim1_half_op_CI_CI
                                        ; -- End function
	.section	.AMDGPU.csdata,"",@progbits
; Kernel info:
; codeLenInByte = 45328
; NumSgprs: 22
; NumVgprs: 203
; ScratchSize: 0
; MemoryBound: 0
; FloatMode: 240
; IeeeMode: 1
; LDSByteSize: 7200 bytes/workgroup (compile time only)
; SGPRBlocks: 2
; VGPRBlocks: 25
; NumSGPRsForWavesPerEU: 22
; NumVGPRsForWavesPerEU: 203
; Occupancy: 7
; WaveLimiterHint : 1
; COMPUTE_PGM_RSRC2:SCRATCH_EN: 0
; COMPUTE_PGM_RSRC2:USER_SGPR: 2
; COMPUTE_PGM_RSRC2:TRAP_HANDLER: 0
; COMPUTE_PGM_RSRC2:TGID_X_EN: 1
; COMPUTE_PGM_RSRC2:TGID_Y_EN: 0
; COMPUTE_PGM_RSRC2:TGID_Z_EN: 0
; COMPUTE_PGM_RSRC2:TIDIG_COMP_CNT: 0
	.text
	.p2alignl 7, 3214868480
	.fill 96, 4, 3214868480
	.type	__hip_cuid_206c157c20b4d865,@object ; @__hip_cuid_206c157c20b4d865
	.section	.bss,"aw",@nobits
	.globl	__hip_cuid_206c157c20b4d865
__hip_cuid_206c157c20b4d865:
	.byte	0                               ; 0x0
	.size	__hip_cuid_206c157c20b4d865, 1

	.ident	"AMD clang version 19.0.0git (https://github.com/RadeonOpenCompute/llvm-project roc-6.4.0 25133 c7fe45cf4b819c5991fe208aaa96edf142730f1d)"
	.section	".note.GNU-stack","",@progbits
	.addrsig
	.addrsig_sym __hip_cuid_206c157c20b4d865
	.amdgpu_metadata
---
amdhsa.kernels:
  - .args:
      - .actual_access:  read_only
        .address_space:  global
        .offset:         0
        .size:           8
        .value_kind:     global_buffer
      - .actual_access:  read_only
        .address_space:  global
        .offset:         8
        .size:           8
        .value_kind:     global_buffer
      - .actual_access:  read_only
        .address_space:  global
        .offset:         16
        .size:           8
        .value_kind:     global_buffer
      - .actual_access:  read_only
        .address_space:  global
        .offset:         24
        .size:           8
        .value_kind:     global_buffer
      - .actual_access:  read_only
        .address_space:  global
        .offset:         32
        .size:           8
        .value_kind:     global_buffer
      - .offset:         40
        .size:           8
        .value_kind:     by_value
      - .address_space:  global
        .offset:         48
        .size:           8
        .value_kind:     global_buffer
      - .address_space:  global
        .offset:         56
        .size:           8
        .value_kind:     global_buffer
      - .address_space:  global
        .offset:         64
        .size:           8
        .value_kind:     global_buffer
      - .address_space:  global
        .offset:         72
        .size:           8
        .value_kind:     global_buffer
      - .offset:         80
        .size:           4
        .value_kind:     by_value
      - .address_space:  global
        .offset:         88
        .size:           8
        .value_kind:     global_buffer
      - .address_space:  global
        .offset:         96
        .size:           8
        .value_kind:     global_buffer
    .group_segment_fixed_size: 7200
    .kernarg_segment_align: 8
    .kernarg_segment_size: 104
    .language:       OpenCL C
    .language_version:
      - 2
      - 0
    .max_flat_workgroup_size: 60
    .name:           bluestein_single_fwd_len150_dim1_half_op_CI_CI
    .private_segment_fixed_size: 0
    .sgpr_count:     22
    .sgpr_spill_count: 0
    .symbol:         bluestein_single_fwd_len150_dim1_half_op_CI_CI.kd
    .uniform_work_group_size: 1
    .uses_dynamic_stack: false
    .vgpr_count:     203
    .vgpr_spill_count: 0
    .wavefront_size: 32
    .workgroup_processor_mode: 1
amdhsa.target:   amdgcn-amd-amdhsa--gfx1201
amdhsa.version:
  - 1
  - 2
...

	.end_amdgpu_metadata
